;; amdgpu-corpus repo=ROCm/rocFFT kind=compiled arch=gfx1201 opt=O3
	.text
	.amdgcn_target "amdgcn-amd-amdhsa--gfx1201"
	.amdhsa_code_object_version 6
	.protected	bluestein_single_back_len882_dim1_sp_op_CI_CI ; -- Begin function bluestein_single_back_len882_dim1_sp_op_CI_CI
	.globl	bluestein_single_back_len882_dim1_sp_op_CI_CI
	.p2align	8
	.type	bluestein_single_back_len882_dim1_sp_op_CI_CI,@function
bluestein_single_back_len882_dim1_sp_op_CI_CI: ; @bluestein_single_back_len882_dim1_sp_op_CI_CI
; %bb.0:
	s_load_b128 s[12:15], s[0:1], 0x28
	v_mul_u32_u24_e32 v1, 0x411, v0
	s_mov_b32 s2, exec_lo
	v_mov_b32_e32 v71, 0
	s_delay_alu instid0(VALU_DEP_2) | instskip(NEXT) | instid1(VALU_DEP_1)
	v_lshrrev_b32_e32 v1, 16, v1
	v_add_nc_u32_e32 v70, ttmp9, v1
	s_wait_kmcnt 0x0
	s_delay_alu instid0(VALU_DEP_1)
	v_cmpx_gt_u64_e64 s[12:13], v[70:71]
	s_cbranch_execz .LBB0_15
; %bb.1:
	s_clause 0x1
	s_load_b128 s[4:7], s[0:1], 0x18
	s_load_b64 s[12:13], s[0:1], 0x0
	v_mul_lo_u16 v1, v1, 63
	s_delay_alu instid0(VALU_DEP_1) | instskip(NEXT) | instid1(VALU_DEP_1)
	v_sub_nc_u16 v26, v0, v1
	v_and_b32_e32 v108, 0xffff, v26
	s_wait_kmcnt 0x0
	s_load_b128 s[8:11], s[4:5], 0x0
	s_wait_kmcnt 0x0
	v_mad_co_u64_u32 v[0:1], null, s10, v70, 0
	v_mad_co_u64_u32 v[2:3], null, s8, v108, 0
	s_mul_u64 s[2:3], s[8:9], 0x62
	s_delay_alu instid0(VALU_DEP_1) | instskip(NEXT) | instid1(VALU_DEP_1)
	v_mad_co_u64_u32 v[4:5], null, s11, v70, v[1:2]
	v_mov_b32_e32 v1, v4
	s_delay_alu instid0(VALU_DEP_3)
	v_mad_co_u64_u32 v[5:6], null, s9, v108, v[3:4]
	v_lshlrev_b32_e32 v107, 3, v108
	s_clause 0x3
	global_load_b64 v[87:88], v107, s[12:13]
	global_load_b64 v[73:74], v107, s[12:13] offset:784
	global_load_b64 v[79:80], v107, s[12:13] offset:1568
	;; [unrolled: 1-line block ×3, first 2 shown]
	v_mov_b32_e32 v3, v5
	v_lshlrev_b64_e32 v[0:1], 3, v[0:1]
	s_clause 0x2
	global_load_b64 v[71:72], v107, s[12:13] offset:3136
	global_load_b64 v[77:78], v107, s[12:13] offset:3920
	;; [unrolled: 1-line block ×3, first 2 shown]
	v_lshlrev_b64_e32 v[2:3], 3, v[2:3]
	v_add_co_u32 v0, vcc_lo, s14, v0
	v_add_co_ci_u32_e32 v1, vcc_lo, s15, v1, vcc_lo
	s_lshl_b64 s[14:15], s[2:3], 3
	s_delay_alu instid0(VALU_DEP_2) | instskip(SKIP_1) | instid1(VALU_DEP_2)
	v_add_co_u32 v0, vcc_lo, v0, v2
	s_wait_alu 0xfffd
	v_add_co_ci_u32_e32 v1, vcc_lo, v1, v3, vcc_lo
	s_wait_alu 0xfffe
	s_delay_alu instid0(VALU_DEP_2) | instskip(SKIP_1) | instid1(VALU_DEP_2)
	v_add_co_u32 v2, vcc_lo, v0, s14
	s_wait_alu 0xfffd
	v_add_co_ci_u32_e32 v3, vcc_lo, s15, v1, vcc_lo
	global_load_b64 v[6:7], v[0:1], off
	v_add_co_u32 v4, vcc_lo, v2, s14
	global_load_b64 v[8:9], v[2:3], off
	s_wait_alu 0xfffd
	v_add_co_ci_u32_e32 v5, vcc_lo, s15, v3, vcc_lo
	v_add_co_u32 v0, vcc_lo, v4, s14
	s_wait_alu 0xfffd
	s_delay_alu instid0(VALU_DEP_2) | instskip(NEXT) | instid1(VALU_DEP_2)
	v_add_co_ci_u32_e32 v1, vcc_lo, s15, v5, vcc_lo
	v_add_co_u32 v2, vcc_lo, v0, s14
	s_clause 0x1
	global_load_b64 v[10:11], v[4:5], off
	global_load_b64 v[12:13], v[0:1], off
	s_wait_alu 0xfffd
	v_add_co_ci_u32_e32 v3, vcc_lo, s15, v1, vcc_lo
	v_add_co_u32 v0, vcc_lo, v2, s14
	s_wait_alu 0xfffd
	s_delay_alu instid0(VALU_DEP_2)
	v_add_co_ci_u32_e32 v1, vcc_lo, s15, v3, vcc_lo
	global_load_b64 v[14:15], v[2:3], off
	v_add_co_u32 v2, vcc_lo, v0, s14
	s_wait_alu 0xfffd
	v_add_co_ci_u32_e32 v3, vcc_lo, s15, v1, vcc_lo
	global_load_b64 v[16:17], v[0:1], off
	v_add_co_u32 v4, vcc_lo, v2, s14
	s_wait_alu 0xfffd
	;; [unrolled: 4-line block ×3, first 2 shown]
	v_add_co_ci_u32_e32 v1, vcc_lo, s15, v5, vcc_lo
	v_cmp_gt_u16_e32 vcc_lo, 35, v26
	s_wait_loadcnt 0x5
	v_mul_f32_e32 v24, v9, v74
	global_load_b64 v[83:84], v107, s[12:13] offset:5488
	global_load_b64 v[20:21], v[4:5], off
	global_load_b64 v[85:86], v107, s[12:13] offset:6272
	global_load_b64 v[22:23], v[0:1], off
	v_mul_f32_e32 v5, v7, v88
	v_dual_mul_f32 v4, v6, v88 :: v_dual_mul_f32 v25, v8, v74
	v_fmac_f32_e32 v24, v8, v73
	s_load_b64 s[10:11], s[0:1], 0x38
	s_load_b128 s[4:7], s[6:7], 0x0
	v_fmac_f32_e32 v5, v6, v87
	v_fma_f32 v6, v7, v87, -v4
	v_fma_f32 v25, v9, v73, -v25
	s_wait_loadcnt 0x8
	v_dual_mul_f32 v8, v10, v80 :: v_dual_add_nc_u32 v3, 0x800, v107
	v_dual_mul_f32 v7, v11, v80 :: v_dual_add_nc_u32 v4, 0x1000, v107
	ds_store_2addr_b64 v107, v[5:6], v[24:25] offset1:98
	s_wait_loadcnt 0x7
	v_mul_f32_e32 v6, v12, v82
	v_mul_f32_e32 v9, v13, v82
	v_fma_f32 v8, v11, v79, -v8
	v_fmac_f32_e32 v7, v10, v79
	s_wait_loadcnt 0x6
	v_mul_f32_e32 v5, v15, v72
	v_fma_f32 v10, v13, v81, -v6
	v_dual_mul_f32 v6, v14, v72 :: v_dual_fmac_f32 v9, v12, v81
	s_wait_loadcnt 0x5
	v_mul_f32_e32 v11, v17, v78
	v_dual_mul_f32 v12, v16, v78 :: v_dual_fmac_f32 v5, v14, v71
	s_delay_alu instid0(VALU_DEP_3)
	v_fma_f32 v6, v15, v71, -v6
	v_add_co_u32 v68, s2, s12, v107
	s_wait_loadcnt 0x4
	v_mul_f32_e32 v13, v19, v76
	v_dual_fmac_f32 v11, v16, v77 :: v_dual_mul_f32 v14, v18, v76
	v_fma_f32 v12, v17, v77, -v12
	v_add_co_ci_u32_e64 v69, null, s13, 0, s2
	s_delay_alu instid0(VALU_DEP_4)
	v_fmac_f32_e32 v13, v18, v75
	v_add_nc_u32_e32 v2, 0x400, v107
	v_fma_f32 v14, v19, v75, -v14
	s_wait_loadcnt 0x2
	v_mul_f32_e32 v16, v20, v84
	v_mul_f32_e32 v15, v21, v84
	s_wait_loadcnt 0x0
	v_mul_f32_e32 v17, v23, v86
	v_mul_f32_e32 v18, v22, v86
	v_fma_f32 v16, v21, v83, -v16
	v_fmac_f32_e32 v15, v20, v83
	s_delay_alu instid0(VALU_DEP_4) | instskip(NEXT) | instid1(VALU_DEP_4)
	v_fmac_f32_e32 v17, v22, v85
	v_fma_f32 v18, v23, v85, -v18
	ds_store_2addr_b64 v2, v[7:8], v[9:10] offset0:68 offset1:166
	ds_store_2addr_b64 v3, v[5:6], v[11:12] offset0:136 offset1:234
	;; [unrolled: 1-line block ×3, first 2 shown]
	ds_store_b64 v107, v[17:18] offset:6272
	s_and_saveexec_b32 s3, vcc_lo
	s_cbranch_execz .LBB0_3
; %bb.2:
	v_mad_co_u64_u32 v[0:1], null, 0xffffe978, s8, v[0:1]
	s_mul_i32 s2, s9, 0xffffe978
	s_clause 0x3
	global_load_b64 v[7:8], v[68:69], off offset:504
	global_load_b64 v[9:10], v[68:69], off offset:1288
	;; [unrolled: 1-line block ×4, first 2 shown]
	s_wait_alu 0xfffe
	s_sub_co_i32 s2, s2, s8
	s_wait_alu 0xfffe
	v_add_nc_u32_e32 v1, s2, v1
	v_add_co_u32 v5, s2, v0, s14
	s_wait_alu 0xf1ff
	s_delay_alu instid0(VALU_DEP_2) | instskip(NEXT) | instid1(VALU_DEP_2)
	v_add_co_ci_u32_e64 v6, s2, s15, v1, s2
	v_add_co_u32 v15, s2, v5, s14
	global_load_b64 v[0:1], v[0:1], off
	s_wait_alu 0xf1ff
	v_add_co_ci_u32_e64 v16, s2, s15, v6, s2
	v_add_co_u32 v17, s2, v15, s14
	global_load_b64 v[5:6], v[5:6], off
	s_wait_alu 0xf1ff
	;; [unrolled: 4-line block ×4, first 2 shown]
	v_add_co_ci_u32_e64 v22, s2, s15, v20, s2
	v_add_co_u32 v23, s2, v21, s14
	s_wait_alu 0xf1ff
	s_delay_alu instid0(VALU_DEP_2)
	v_add_co_ci_u32_e64 v24, s2, s15, v22, s2
	s_clause 0x1
	global_load_b64 v[25:26], v[68:69], off offset:3640
	global_load_b64 v[27:28], v[68:69], off offset:4424
	global_load_b64 v[19:20], v[19:20], off
	global_load_b64 v[21:22], v[21:22], off
	;; [unrolled: 1-line block ×3, first 2 shown]
	v_add_co_u32 v23, s2, v23, s14
	s_wait_alu 0xf1ff
	v_add_co_ci_u32_e64 v24, s2, s15, v24, s2
	global_load_b64 v[31:32], v[68:69], off offset:5208
	v_add_co_u32 v33, s2, v23, s14
	s_wait_alu 0xf1ff
	v_add_co_ci_u32_e64 v34, s2, s15, v24, s2
	global_load_b64 v[23:24], v[23:24], off
	s_clause 0x1
	global_load_b64 v[35:36], v[68:69], off offset:5992
	global_load_b64 v[37:38], v[68:69], off offset:6776
	global_load_b64 v[33:34], v[33:34], off
	s_wait_loadcnt 0xd
	v_mul_f32_e32 v40, v0, v8
	s_wait_loadcnt 0xc
	v_dual_mul_f32 v39, v1, v8 :: v_dual_mul_f32 v8, v6, v10
	s_delay_alu instid0(VALU_DEP_2) | instskip(SKIP_2) | instid1(VALU_DEP_4)
	v_fma_f32 v40, v1, v7, -v40
	v_mul_f32_e32 v1, v5, v10
	v_add_nc_u32_e32 v41, 0xc00, v107
	v_dual_fmac_f32 v39, v0, v7 :: v_dual_fmac_f32 v8, v5, v9
	s_wait_loadcnt 0xb
	v_mul_f32_e32 v0, v16, v12
	v_mul_f32_e32 v7, v15, v12
	v_fma_f32 v9, v6, v9, -v1
	s_wait_loadcnt 0xa
	s_delay_alu instid0(VALU_DEP_3) | instskip(SKIP_2) | instid1(VALU_DEP_2)
	v_dual_mul_f32 v5, v18, v14 :: v_dual_fmac_f32 v0, v15, v11
	v_mul_f32_e32 v6, v17, v14
	s_wait_loadcnt 0x7
	v_dual_fmac_f32 v5, v17, v13 :: v_dual_mul_f32 v10, v20, v26
	s_wait_loadcnt 0x6
	v_mul_f32_e32 v12, v22, v28
	v_fma_f32 v1, v16, v11, -v7
	v_mul_f32_e32 v7, v19, v26
	v_fma_f32 v6, v18, v13, -v6
	v_dual_mul_f32 v13, v21, v28 :: v_dual_fmac_f32 v10, v19, v25
	s_wait_loadcnt 0x4
	v_mul_f32_e32 v14, v30, v32
	v_fma_f32 v11, v20, v25, -v7
	s_wait_loadcnt 0x2
	v_dual_fmac_f32 v12, v21, v27 :: v_dual_mul_f32 v17, v23, v36
	s_wait_loadcnt 0x0
	v_dual_mul_f32 v7, v29, v32 :: v_dual_mul_f32 v18, v34, v38
	v_dual_mul_f32 v16, v24, v36 :: v_dual_mul_f32 v19, v33, v38
	v_fma_f32 v13, v22, v27, -v13
	v_fmac_f32_e32 v14, v29, v31
	s_delay_alu instid0(VALU_DEP_4) | instskip(NEXT) | instid1(VALU_DEP_4)
	v_fma_f32 v15, v30, v31, -v7
	v_fmac_f32_e32 v16, v23, v35
	v_fma_f32 v17, v24, v35, -v17
	v_fmac_f32_e32 v18, v33, v37
	v_fma_f32 v19, v34, v37, -v19
	ds_store_2addr_b64 v107, v[39:40], v[8:9] offset0:63 offset1:161
	ds_store_2addr_b64 v3, v[0:1], v[5:6] offset0:3 offset1:101
	ds_store_2addr_b64 v41, v[10:11], v[12:13] offset0:71 offset1:169
	ds_store_2addr_b64 v4, v[14:15], v[16:17] offset0:139 offset1:237
	ds_store_b64 v107, v[18:19] offset:6776
.LBB0_3:
	s_wait_alu 0xfffe
	s_or_b32 exec_lo, exec_lo, s3
	global_wb scope:SCOPE_SE
	s_wait_dscnt 0x0
	s_wait_kmcnt 0x0
	s_barrier_signal -1
	s_barrier_wait -1
	global_inv scope:SCOPE_SE
	ds_load_2addr_b64 v[8:11], v107 offset1:98
	ds_load_2addr_b64 v[24:27], v2 offset0:68 offset1:166
	ds_load_2addr_b64 v[20:23], v3 offset0:136 offset1:234
	;; [unrolled: 1-line block ×3, first 2 shown]
	ds_load_b64 v[34:35], v107 offset:6272
	s_load_b64 s[0:1], s[0:1], 0x8
	v_mov_b32_e32 v2, 0
	v_mov_b32_e32 v3, 0
                                        ; implicit-def: $vgpr16
                                        ; implicit-def: $vgpr32
	s_delay_alu instid0(VALU_DEP_1)
	v_dual_mov_b32 v13, v3 :: v_dual_mov_b32 v12, v2
	v_dual_mov_b32 v15, v3 :: v_dual_mov_b32 v14, v2
	;; [unrolled: 1-line block ×3, first 2 shown]
	s_and_saveexec_b32 s2, vcc_lo
	s_cbranch_execz .LBB0_5
; %bb.4:
	v_add_nc_u32_e32 v4, 0x800, v107
	v_add_nc_u32_e32 v5, 0xc00, v107
	;; [unrolled: 1-line block ×3, first 2 shown]
	ds_load_2addr_b64 v[0:3], v107 offset0:63 offset1:161
	ds_load_2addr_b64 v[12:15], v4 offset0:3 offset1:101
	;; [unrolled: 1-line block ×4, first 2 shown]
	ds_load_b64 v[32:33], v107 offset:6776
.LBB0_5:
	s_wait_alu 0xfffe
	s_or_b32 exec_lo, exec_lo, s2
	s_wait_dscnt 0x0
	v_dual_add_f32 v44, v10, v34 :: v_dual_add_f32 v45, v11, v35
	v_dual_sub_f32 v10, v10, v34 :: v_dual_add_f32 v47, v25, v31
	v_dual_add_f32 v46, v24, v30 :: v_dual_sub_f32 v11, v11, v35
	v_dual_sub_f32 v24, v24, v30 :: v_dual_sub_f32 v25, v25, v31
	s_delay_alu instid0(VALU_DEP_3) | instskip(SKIP_1) | instid1(VALU_DEP_4)
	v_mul_f32_e32 v30, 0x3f248dbb, v10
	v_dual_add_f32 v48, v26, v28 :: v_dual_sub_f32 v49, v27, v29
	v_dual_mul_f32 v31, 0x3f248dbb, v11 :: v_dual_sub_f32 v26, v26, v28
	s_delay_alu instid0(VALU_DEP_3) | instskip(SKIP_1) | instid1(VALU_DEP_3)
	v_dual_fmac_f32 v30, 0x3f7c1c5c, v24 :: v_dual_add_f32 v27, v27, v29
	v_dual_fmamk_f32 v28, v44, 0x3f441b7d, v8 :: v_dual_fmamk_f32 v29, v45, 0x3f441b7d, v9
	v_fmac_f32_e32 v31, 0x3f7c1c5c, v25
	s_delay_alu instid0(VALU_DEP_3) | instskip(SKIP_1) | instid1(VALU_DEP_4)
	v_fmac_f32_e32 v30, 0x3f5db3d7, v26
	v_sub_f32_e32 v50, v20, v22
	v_dual_fmac_f32 v28, 0x3e31d0d4, v46 :: v_dual_sub_f32 v51, v21, v23
	v_fmac_f32_e32 v29, 0x3e31d0d4, v47
	v_dual_fmac_f32 v31, 0x3f5db3d7, v49 :: v_dual_add_f32 v52, v20, v22
	s_delay_alu instid0(VALU_DEP_3) | instskip(SKIP_1) | instid1(VALU_DEP_4)
	v_fmac_f32_e32 v28, -0.5, v48
	v_dual_fmac_f32 v30, 0x3eaf1d44, v50 :: v_dual_add_f32 v53, v21, v23
	v_fmac_f32_e32 v29, -0.5, v27
	s_delay_alu instid0(VALU_DEP_4) | instskip(NEXT) | instid1(VALU_DEP_4)
	v_fmac_f32_e32 v31, 0x3eaf1d44, v51
	v_fmac_f32_e32 v28, 0xbf708fb2, v52
	v_dual_mul_f32 v41, 0xbf248dbb, v50 :: v_dual_mul_f32 v40, 0xbf248dbb, v51
	s_delay_alu instid0(VALU_DEP_4) | instskip(NEXT) | instid1(VALU_DEP_3)
	v_fmac_f32_e32 v29, 0xbf708fb2, v53
	v_dual_fmamk_f32 v37, v52, 0x3f441b7d, v8 :: v_dual_add_f32 v34, v31, v28
	s_delay_alu instid0(VALU_DEP_3) | instskip(SKIP_1) | instid1(VALU_DEP_3)
	v_dual_fmac_f32 v41, 0x3f7c1c5c, v10 :: v_dual_fmac_f32 v40, 0x3f7c1c5c, v11
	v_add_co_u32 v28, s2, v108, 63
	v_fmac_f32_e32 v37, 0x3e31d0d4, v44
	v_sub_f32_e32 v35, v29, v30
	s_wait_alu 0xf1ff
	v_add_co_ci_u32_e64 v29, null, 0, 0, s2
	v_dual_fmac_f32 v41, 0xbf5db3d7, v26 :: v_dual_fmac_f32 v40, 0xbf5db3d7, v49
	v_fmac_f32_e32 v37, -0.5, v48
	v_add_f32_e32 v29, v50, v10
	v_fmamk_f32 v39, v53, 0x3f441b7d, v9
	v_fma_f32 v36, -2.0, v31, v34
	v_dual_fmac_f32 v40, 0x3eaf1d44, v25 :: v_dual_add_f32 v31, v46, v44
	v_mul_f32_e32 v50, 0x3f7c1c5c, v50
	v_fmac_f32_e32 v37, 0xbf708fb2, v46
	v_sub_f32_e32 v29, v29, v24
	v_add_f32_e32 v42, v48, v8
	v_add_f32_e32 v55, v52, v31
	v_fmac_f32_e32 v41, 0x3eaf1d44, v24
	v_add_f32_e32 v38, v37, v40
	v_mul_f32_e32 v56, 0x3f5db3d7, v29
	v_fma_f32 v37, 2.0, v30, v35
	v_dual_add_f32 v30, v51, v11 :: v_dual_fmac_f32 v39, 0x3e31d0d4, v45
	v_fmac_f32_e32 v42, -0.5, v55
	v_add_f32_e32 v54, v47, v45
	v_fma_f32 v24, 0xbf248dbb, v24, -v50
	s_delay_alu instid0(VALU_DEP_4) | instskip(SKIP_2) | instid1(VALU_DEP_4)
	v_dual_sub_f32 v30, v30, v25 :: v_dual_fmac_f32 v39, -0.5, v27
	v_add_f32_e32 v43, v27, v9
	v_mul_u32_u24_e32 v109, 9, v28
	v_fmac_f32_e32 v24, 0x3f5db3d7, v26
	s_delay_alu instid0(VALU_DEP_4)
	v_mul_f32_e32 v55, 0x3f5db3d7, v30
	v_fmac_f32_e32 v42, 0x3f5db3d7, v30
	v_dual_fmamk_f32 v30, v46, 0x3f441b7d, v8 :: v_dual_add_f32 v57, v53, v54
	v_fmamk_f32 v46, v47, 0x3f441b7d, v9
	v_fmac_f32_e32 v24, 0x3eaf1d44, v10
	v_add_f32_e32 v10, v48, v31
	s_delay_alu instid0(VALU_DEP_4) | instskip(SKIP_3) | instid1(VALU_DEP_4)
	v_fmac_f32_e32 v30, 0x3e31d0d4, v52
	v_mul_f32_e32 v51, 0x3f7c1c5c, v51
	v_fmac_f32_e32 v43, -0.5, v57
	v_dual_fmac_f32 v39, 0xbf708fb2, v47 :: v_dual_add_f32 v26, v27, v54
	v_fmac_f32_e32 v30, -0.5, v48
	s_delay_alu instid0(VALU_DEP_4) | instskip(NEXT) | instid1(VALU_DEP_4)
	v_fma_f32 v25, 0xbf248dbb, v25, -v51
	v_dual_fmac_f32 v43, 0xbf5db3d7, v29 :: v_dual_add_f32 v10, v20, v10
	v_dual_fmac_f32 v46, 0x3e31d0d4, v53 :: v_dual_sub_f32 v29, v12, v18
	s_delay_alu instid0(VALU_DEP_3) | instskip(NEXT) | instid1(VALU_DEP_3)
	v_dual_add_f32 v12, v18, v12 :: v_dual_fmac_f32 v25, 0x3f5db3d7, v49
	v_add_f32_e32 v10, v22, v10
	v_dual_add_f32 v18, v16, v14 :: v_dual_sub_f32 v31, v3, v33
	v_add_f32_e32 v49, v6, v4
	s_delay_alu instid0(VALU_DEP_4) | instskip(SKIP_3) | instid1(VALU_DEP_3)
	v_fmac_f32_e32 v25, 0x3eaf1d44, v11
	v_dual_add_f32 v11, v21, v26 :: v_dual_fmac_f32 v46, -0.5, v27
	v_fmac_f32_e32 v30, 0xbf708fb2, v44
	v_add_f32_e32 v44, v10, v8
	v_dual_mul_f32 v10, 0x3f7c1c5c, v29 :: v_dual_add_f32 v11, v23, v11
	s_delay_alu instid0(VALU_DEP_4) | instskip(NEXT) | instid1(VALU_DEP_4)
	v_fmac_f32_e32 v46, 0xbf708fb2, v45
	v_add_f32_e32 v22, v25, v30
	v_dual_add_f32 v30, v19, v13 :: v_dual_sub_f32 v13, v13, v19
	s_delay_alu instid0(VALU_DEP_4) | instskip(NEXT) | instid1(VALU_DEP_4)
	v_add_f32_e32 v45, v11, v9
	v_sub_f32_e32 v23, v46, v24
	s_delay_alu instid0(VALU_DEP_4) | instskip(SKIP_2) | instid1(VALU_DEP_4)
	v_fma_f32 v46, -2.0, v25, v22
	v_add_f32_e32 v25, v33, v3
	v_dual_sub_f32 v19, v2, v32 :: v_dual_mul_f32 v8, 0x3f7c1c5c, v13
	v_fma_f32 v47, 2.0, v24, v23
	v_add_f32_e32 v24, v32, v2
	v_dual_sub_f32 v32, v14, v16 :: v_dual_sub_f32 v33, v15, v17
	s_delay_alu instid0(VALU_DEP_4) | instskip(NEXT) | instid1(VALU_DEP_3)
	v_fmac_f32_e32 v10, 0x3f248dbb, v19
	v_dual_fmamk_f32 v3, v25, 0x3f441b7d, v1 :: v_dual_fmamk_f32 v2, v24, 0x3f441b7d, v0
	v_dual_add_f32 v14, v17, v15 :: v_dual_sub_f32 v17, v4, v6
	v_dual_add_f32 v50, v7, v5 :: v_dual_fmamk_f32 v9, v49, 0x3f441b7d, v0
	s_delay_alu instid0(VALU_DEP_3) | instskip(NEXT) | instid1(VALU_DEP_3)
	v_dual_sub_f32 v48, v5, v7 :: v_dual_fmac_f32 v3, 0x3e31d0d4, v30
	v_mul_f32_e32 v11, 0xbf248dbb, v17
	s_delay_alu instid0(VALU_DEP_3) | instskip(SKIP_3) | instid1(VALU_DEP_4)
	v_fmamk_f32 v16, v50, 0x3f441b7d, v1
	v_fmac_f32_e32 v8, 0x3f248dbb, v31
	v_fmac_f32_e32 v9, 0x3e31d0d4, v24
	v_fmac_f32_e32 v3, -0.5, v14
	v_dual_add_f32 v27, v31, v48 :: v_dual_fmac_f32 v16, 0x3e31d0d4, v25
	v_fmac_f32_e32 v11, 0x3f7c1c5c, v19
	s_delay_alu instid0(VALU_DEP_4) | instskip(SKIP_1) | instid1(VALU_DEP_3)
	v_dual_fmac_f32 v10, 0x3f5db3d7, v32 :: v_dual_fmac_f32 v9, -0.5, v18
	v_fmac_f32_e32 v8, 0x3f5db3d7, v33
	v_dual_fmac_f32 v16, -0.5, v14 :: v_dual_fmac_f32 v11, 0xbf5db3d7, v32
	v_dual_mul_f32 v15, 0xbf248dbb, v48 :: v_dual_add_f32 v26, v19, v17
	s_delay_alu instid0(VALU_DEP_3) | instskip(NEXT) | instid1(VALU_DEP_3)
	v_fmac_f32_e32 v8, 0x3eaf1d44, v48
	v_fmac_f32_e32 v16, 0xbf708fb2, v30
	s_delay_alu instid0(VALU_DEP_4)
	v_fmac_f32_e32 v11, 0x3eaf1d44, v29
	v_fmac_f32_e32 v10, 0x3eaf1d44, v17
	;; [unrolled: 1-line block ×6, first 2 shown]
	v_sub_f32_e32 v51, v26, v29
	v_sub_f32_e32 v3, v3, v10
	s_delay_alu instid0(VALU_DEP_4) | instskip(NEXT) | instid1(VALU_DEP_3)
	v_dual_fmac_f32 v2, -0.5, v18 :: v_dual_fmac_f32 v15, 0xbf5db3d7, v33
	v_dual_sub_f32 v52, v27, v13 :: v_dual_mul_f32 v53, 0x3f5db3d7, v51
	v_fma_f32 v20, -2.0, v55, v42
	s_delay_alu instid0(VALU_DEP_3) | instskip(NEXT) | instid1(VALU_DEP_4)
	v_fmac_f32_e32 v2, 0xbf708fb2, v49
	v_fmac_f32_e32 v15, 0x3eaf1d44, v13
	v_fma_f32 v21, 2.0, v56, v43
	v_mul_f32_e32 v54, 0x3f5db3d7, v52
	v_mul_f32_e32 v48, 0x3f7c1c5c, v48
	v_dual_add_f32 v2, v2, v8 :: v_dual_sub_f32 v39, v39, v41
	v_fma_f32 v40, -2.0, v40, v38
	global_wb scope:SCOPE_SE
	s_wait_kmcnt 0x0
	s_barrier_signal -1
	v_fma_f32 v89, -2.0, v8, v2
	v_dual_add_f32 v8, v15, v9 :: v_dual_sub_f32 v9, v16, v11
	v_dual_add_f32 v16, v25, v30 :: v_dual_mul_f32 v17, 0x3f7c1c5c, v17
	v_fmamk_f32 v30, v30, 0x3f441b7d, v1
	s_delay_alu instid0(VALU_DEP_3) | instskip(SKIP_1) | instid1(VALU_DEP_4)
	v_fma_f32 v26, -2.0, v15, v8
	v_add_f32_e32 v15, v24, v12
	v_add_f32_e32 v56, v16, v50
	v_fma_f32 v27, 2.0, v11, v9
	v_dual_add_f32 v11, v1, v14 :: v_dual_fmamk_f32 v12, v12, 0x3f441b7d, v0
	s_delay_alu instid0(VALU_DEP_4)
	v_add_f32_e32 v55, v15, v49
	v_fma_f32 v90, 2.0, v10, v3
	v_add_f32_e32 v10, v0, v18
	v_fma_f32 v17, 0xbf248dbb, v29, -v17
	v_fma_f32 v29, 0xbf248dbb, v13, -v48
	v_dual_fmac_f32 v30, 0x3e31d0d4, v50 :: v_dual_fmac_f32 v11, -0.5, v56
	v_fmac_f32_e32 v12, 0x3e31d0d4, v49
	s_delay_alu instid0(VALU_DEP_4) | instskip(NEXT) | instid1(VALU_DEP_3)
	v_dual_fmac_f32 v10, -0.5, v55 :: v_dual_fmac_f32 v17, 0x3f5db3d7, v32
	v_dual_fmac_f32 v29, 0x3f5db3d7, v33 :: v_dual_fmac_f32 v30, -0.5, v14
	s_delay_alu instid0(VALU_DEP_3) | instskip(NEXT) | instid1(VALU_DEP_3)
	v_fmac_f32_e32 v12, -0.5, v18
	v_fmac_f32_e32 v10, 0x3f5db3d7, v52
	s_delay_alu instid0(VALU_DEP_4) | instskip(NEXT) | instid1(VALU_DEP_4)
	v_fmac_f32_e32 v17, 0x3eaf1d44, v19
	v_fmac_f32_e32 v29, 0x3eaf1d44, v31
	;; [unrolled: 1-line block ×4, first 2 shown]
	v_mul_lo_u16 v19, v108, 9
	v_fma_f32 v24, -2.0, v54, v10
	v_fma_f32 v41, 2.0, v41, v39
	v_sub_f32_e32 v13, v30, v17
	v_dual_fmac_f32 v11, 0xbf5db3d7, v51 :: v_dual_add_f32 v12, v12, v29
	v_and_b32_e32 v19, 0xffff, v19
	s_barrier_wait -1
	s_delay_alu instid0(VALU_DEP_3) | instskip(NEXT) | instid1(VALU_DEP_3)
	v_fma_f32 v31, 2.0, v17, v13
	v_fma_f32 v25, 2.0, v53, v11
	v_fma_f32 v30, -2.0, v29, v12
	v_lshlrev_b32_e32 v112, 3, v19
	global_inv scope:SCOPE_SE
	ds_store_2addr_b64 v112, v[44:45], v[34:35] offset1:1
	ds_store_2addr_b64 v112, v[38:39], v[42:43] offset0:2 offset1:3
	ds_store_2addr_b64 v112, v[22:23], v[46:47] offset0:4 offset1:5
	;; [unrolled: 1-line block ×3, first 2 shown]
	ds_store_b64 v112, v[36:37] offset:64
	s_and_saveexec_b32 s2, vcc_lo
	s_cbranch_execz .LBB0_7
; %bb.6:
	v_add_f32_e32 v14, v16, v14
	v_add_f32_e32 v15, v15, v18
	s_delay_alu instid0(VALU_DEP_1) | instskip(NEXT) | instid1(VALU_DEP_1)
	v_dual_add_f32 v5, v14, v5 :: v_dual_add_f32 v4, v15, v4
	v_dual_add_f32 v5, v7, v5 :: v_dual_add_f32 v4, v6, v4
	v_lshlrev_b32_e32 v6, 3, v109
	s_delay_alu instid0(VALU_DEP_2)
	v_dual_add_f32 v1, v1, v5 :: v_dual_add_f32 v0, v0, v4
	ds_store_2addr_b64 v6, v[12:13], v[30:31] offset0:4 offset1:5
	ds_store_2addr_b64 v6, v[24:25], v[26:27] offset0:6 offset1:7
	ds_store_2addr_b64 v6, v[0:1], v[2:3] offset1:1
	ds_store_2addr_b64 v6, v[8:9], v[10:11] offset0:2 offset1:3
	ds_store_b64 v6, v[89:90] offset:64
.LBB0_7:
	s_wait_alu 0xfffe
	s_or_b32 exec_lo, exec_lo, s2
	v_and_b32_e32 v0, 0xff, v108
	global_wb scope:SCOPE_SE
	s_wait_dscnt 0x0
	s_barrier_signal -1
	s_barrier_wait -1
	global_inv scope:SCOPE_SE
	v_mul_lo_u16 v0, v0, 57
	s_delay_alu instid0(VALU_DEP_1) | instskip(NEXT) | instid1(VALU_DEP_1)
	v_lshrrev_b16 v29, 9, v0
	v_mul_lo_u16 v1, v29, 9
	s_delay_alu instid0(VALU_DEP_1) | instskip(NEXT) | instid1(VALU_DEP_1)
	v_sub_nc_u16 v1, v108, v1
	v_and_b32_e32 v54, 0xff, v1
	s_delay_alu instid0(VALU_DEP_1) | instskip(NEXT) | instid1(VALU_DEP_1)
	v_mul_u32_u24_e32 v1, 6, v54
	v_lshlrev_b32_e32 v1, 3, v1
	s_clause 0x1
	global_load_b128 v[20:23], v1, s[0:1]
	global_load_b128 v[16:19], v1, s[0:1] offset:16
	v_and_b32_e32 v0, 0xff, v28
	v_add_nc_u32_e32 v57, 0x400, v107
	s_delay_alu instid0(VALU_DEP_2) | instskip(NEXT) | instid1(VALU_DEP_1)
	v_mul_lo_u16 v0, v0, 57
	v_lshrrev_b16 v44, 9, v0
	s_delay_alu instid0(VALU_DEP_1) | instskip(NEXT) | instid1(VALU_DEP_1)
	v_mul_lo_u16 v0, v44, 9
	v_sub_nc_u16 v0, v28, v0
	v_and_b32_e32 v28, 0xffff, v29
	s_delay_alu instid0(VALU_DEP_2) | instskip(NEXT) | instid1(VALU_DEP_1)
	v_and_b32_e32 v55, 0xff, v0
	v_mul_u32_u24_e32 v0, 6, v55
	s_delay_alu instid0(VALU_DEP_1)
	v_lshlrev_b32_e32 v0, 3, v0
	s_clause 0x3
	global_load_b128 v[12:15], v1, s[0:1] offset:32
	global_load_b128 v[8:11], v0, s[0:1]
	global_load_b128 v[4:7], v0, s[0:1] offset:16
	global_load_b128 v[0:3], v0, s[0:1] offset:32
	v_add_nc_u32_e32 v56, 0x800, v107
	ds_load_2addr_b64 v[32:35], v107 offset0:126 offset1:189
	ds_load_2addr_b64 v[36:39], v57 offset0:124 offset1:187
	;; [unrolled: 1-line block ×3, first 2 shown]
	v_add_nc_u32_e32 v52, 0xc00, v107
	v_add_nc_u32_e32 v64, 0x1000, v107
	;; [unrolled: 1-line block ×3, first 2 shown]
	v_and_b32_e32 v29, 0xffff, v44
	s_wait_loadcnt_dscnt 0x400
	v_mul_f32_e32 v65, v41, v17
	v_mul_f32_e32 v66, v40, v17
	s_wait_loadcnt 0x2
	s_delay_alu instid0(VALU_DEP_1)
	v_dual_fmac_f32 v66, v41, v16 :: v_dual_mul_f32 v101, v34, v9
	s_wait_loadcnt 0x1
	v_mul_f32_e32 v105, v42, v5
	ds_load_2addr_b64 v[44:47], v52 offset0:120 offset1:183
	ds_load_2addr_b64 v[48:51], v64 offset0:118 offset1:181
	;; [unrolled: 1-line block ×3, first 2 shown]
	v_mul_f32_e32 v100, v35, v9
	v_mul_f32_e32 v102, v39, v11
	v_dual_mul_f32 v103, v38, v11 :: v_dual_mul_f32 v104, v43, v5
	ds_load_2addr_b64 v[91:94], v107 offset1:63
	global_wb scope:SCOPE_SE
	s_wait_loadcnt_dscnt 0x0
	s_barrier_signal -1
	s_barrier_wait -1
	global_inv scope:SCOPE_SE
	v_fma_f32 v34, v34, v8, -v100
	v_fmac_f32_e32 v105, v43, v4
	v_mul_f32_e32 v95, v44, v19
	v_mul_u32_u24_e32 v62, 63, v28
	v_mul_f32_e32 v98, v59, v15
	v_mul_u32_u24_e32 v63, 63, v29
	v_mul_f32_e32 v67, v45, v19
	v_mul_f32_e32 v96, v49, v13
	v_add_lshl_u32 v111, v62, v54, 3
	v_mul_f32_e32 v54, v33, v21
	v_add_lshl_u32 v110, v63, v55, 3
	v_dual_mul_f32 v55, v32, v21 :: v_dual_mul_f32 v62, v37, v23
	v_mul_f32_e32 v63, v36, v23
	v_mul_f32_e32 v97, v48, v13
	;; [unrolled: 1-line block ×3, first 2 shown]
	s_delay_alu instid0(VALU_DEP_4) | instskip(SKIP_1) | instid1(VALU_DEP_3)
	v_dual_mul_f32 v106, v47, v7 :: v_dual_fmac_f32 v55, v33, v20
	v_dual_mul_f32 v113, v46, v7 :: v_dual_mul_f32 v114, v51, v1
	v_dual_mul_f32 v116, v61, v3 :: v_dual_fmac_f32 v99, v59, v14
	v_mul_f32_e32 v115, v50, v1
	v_mul_f32_e32 v117, v60, v3
	v_fma_f32 v32, v32, v20, -v54
	v_fma_f32 v33, v36, v22, -v62
	;; [unrolled: 1-line block ×5, first 2 shown]
	v_fmac_f32_e32 v63, v37, v22
	v_fma_f32 v37, v44, v18, -v67
	v_fmac_f32_e32 v95, v45, v18
	v_fmac_f32_e32 v97, v49, v12
	;; [unrolled: 1-line block ×3, first 2 shown]
	v_fma_f32 v39, v46, v6, -v106
	v_add_f32_e32 v46, v33, v40
	v_fma_f32 v43, v60, v2, -v116
	v_fmac_f32_e32 v101, v35, v8
	v_fma_f32 v35, v38, v10, -v102
	v_fma_f32 v38, v42, v4, -v104
	;; [unrolled: 1-line block ×3, first 2 shown]
	v_dual_add_f32 v50, v34, v43 :: v_dual_fmac_f32 v113, v47, v6
	s_delay_alu instid0(VALU_DEP_3)
	v_dual_fmac_f32 v115, v51, v0 :: v_dual_add_f32 v58, v38, v39
	v_dual_add_f32 v44, v32, v41 :: v_dual_add_f32 v45, v55, v99
	v_dual_sub_f32 v32, v32, v41 :: v_dual_sub_f32 v33, v33, v40
	v_add_f32_e32 v54, v35, v42
	v_dual_add_f32 v48, v36, v37 :: v_dual_fmac_f32 v117, v61, v2
	v_sub_f32_e32 v40, v63, v97
	v_add_f32_e32 v47, v63, v97
	v_dual_add_f32 v49, v66, v95 :: v_dual_sub_f32 v38, v39, v38
	v_sub_f32_e32 v36, v37, v36
	v_dual_sub_f32 v34, v34, v43 :: v_dual_sub_f32 v35, v35, v42
	v_dual_sub_f32 v96, v33, v32 :: v_dual_sub_f32 v41, v55, v99
	;; [unrolled: 1-line block ×3, first 2 shown]
	v_dual_add_f32 v51, v101, v117 :: v_dual_sub_f32 v42, v103, v115
	v_add_f32_e32 v60, v46, v44
	v_dual_sub_f32 v44, v44, v48 :: v_dual_add_f32 v61, v47, v45
	v_dual_sub_f32 v63, v47, v45 :: v_dual_add_f32 v100, v38, v35
	v_dual_sub_f32 v45, v45, v49 :: v_dual_sub_f32 v102, v38, v35
	v_dual_add_f32 v65, v36, v33 :: v_dual_sub_f32 v38, v34, v38
	v_dual_sub_f32 v67, v36, v33 :: v_dual_sub_f32 v104, v35, v34
	v_dual_sub_f32 v36, v32, v36 :: v_dual_add_f32 v55, v103, v115
	v_dual_add_f32 v66, v37, v40 :: v_dual_add_f32 v33, v54, v50
	v_dual_sub_f32 v43, v101, v117 :: v_dual_sub_f32 v46, v48, v46
	v_dual_add_f32 v59, v105, v113 :: v_dual_sub_f32 v98, v54, v50
	v_dual_sub_f32 v39, v113, v105 :: v_dual_sub_f32 v50, v50, v58
	v_sub_f32_e32 v47, v49, v47
	v_sub_f32_e32 v95, v37, v40
	v_dual_sub_f32 v37, v41, v37 :: v_dual_add_f32 v48, v48, v60
	v_dual_sub_f32 v40, v40, v41 :: v_dual_add_f32 v97, v55, v51
	v_sub_f32_e32 v54, v58, v54
	v_dual_add_f32 v60, v65, v32 :: v_dual_sub_f32 v99, v55, v51
	v_dual_add_f32 v58, v58, v33 :: v_dual_sub_f32 v51, v51, v59
	v_dual_mul_f32 v50, 0x3f4a47b2, v50 :: v_dual_sub_f32 v55, v59, v55
	v_add_f32_e32 v101, v39, v42
	v_dual_add_f32 v41, v66, v41 :: v_dual_add_f32 v32, v91, v48
	v_dual_mul_f32 v35, 0x3f4a47b2, v44 :: v_dual_mul_f32 v44, 0x3f4a47b2, v45
	v_add_f32_e32 v59, v59, v97
	v_add_f32_e32 v97, v100, v34
	;; [unrolled: 1-line block ×3, first 2 shown]
	v_dual_sub_f32 v103, v39, v42 :: v_dual_sub_f32 v42, v42, v43
	v_dual_add_f32 v49, v49, v61 :: v_dual_mul_f32 v66, 0xbf08b237, v95
	v_mul_f32_e32 v95, 0x3f5ff5aa, v40
	v_dual_sub_f32 v39, v43, v39 :: v_dual_mul_f32 v102, 0xbf08b237, v102
	s_delay_alu instid0(VALU_DEP_3) | instskip(NEXT) | instid1(VALU_DEP_3)
	v_dual_mul_f32 v106, 0x3f5ff5aa, v42 :: v_dual_add_f32 v33, v92, v49
	v_fma_f32 v92, 0xbeae86e6, v37, -v95
	v_mul_f32_e32 v45, 0x3d64c772, v46
	v_mul_f32_e32 v65, 0xbf08b237, v67
	;; [unrolled: 1-line block ×3, first 2 shown]
	v_fmamk_f32 v46, v46, 0x3d64c772, v35
	v_fmac_f32_e32 v92, 0x3ee1c552, v41
	v_fmamk_f32 v91, v37, 0x3eae86e6, v66
	v_fma_f32 v66, 0x3f5ff5aa, v40, -v66
	v_mul_f32_e32 v61, 0x3d64c772, v47
	v_add_f32_e32 v43, v101, v43
	v_fma_f32 v40, 0x3f3bfb3b, v98, -v100
	v_fmamk_f32 v93, v38, 0x3eae86e6, v102
	v_fmac_f32_e32 v66, 0x3ee1c552, v41
	v_mul_f32_e32 v105, 0x3f5ff5aa, v104
	v_fmac_f32_e32 v91, 0x3ee1c552, v41
	v_fmamk_f32 v41, v58, 0xbf955555, v34
	v_mul_f32_e32 v67, 0x3f5ff5aa, v96
	v_fmamk_f32 v47, v47, 0x3d64c772, v44
	v_fma_f32 v61, 0x3f3bfb3b, v63, -v61
	v_fma_f32 v44, 0xbf3bfb3b, v63, -v44
	v_fmamk_f32 v63, v36, 0x3eae86e6, v65
	v_fma_f32 v67, 0xbeae86e6, v36, -v67
	v_fmamk_f32 v36, v54, 0x3d64c772, v50
	v_fma_f32 v45, 0x3f3bfb3b, v62, -v45
	v_fma_f32 v62, 0xbf3bfb3b, v62, -v35
	;; [unrolled: 1-line block ×4, first 2 shown]
	v_fmamk_f32 v38, v48, 0xbf955555, v32
	v_mul_f32_e32 v51, 0x3f4a47b2, v51
	v_add_f32_e32 v35, v94, v59
	v_dual_fmac_f32 v67, 0x3ee1c552, v60 :: v_dual_add_f32 v58, v40, v41
	s_delay_alu instid0(VALU_DEP_4)
	v_dual_add_f32 v48, v62, v38 :: v_dual_mul_f32 v103, 0xbf08b237, v103
	v_fma_f32 v65, 0x3f5ff5aa, v96, -v65
	v_add_f32_e32 v46, v46, v38
	v_add_f32_e32 v62, v36, v41
	v_fma_f32 v95, 0x3f5ff5aa, v104, -v102
	v_fma_f32 v96, 0x3f5ff5aa, v42, -v103
	v_fmamk_f32 v94, v39, 0x3eae86e6, v103
	v_fmac_f32_e32 v98, 0x3ee1c552, v97
	v_fmamk_f32 v42, v59, 0xbf955555, v35
	s_delay_alu instid0(VALU_DEP_4) | instskip(SKIP_3) | instid1(VALU_DEP_3)
	v_dual_fmac_f32 v95, 0x3ee1c552, v97 :: v_dual_fmac_f32 v96, 0x3ee1c552, v43
	v_dual_mul_f32 v101, 0x3d64c772, v55 :: v_dual_add_f32 v36, v91, v46
	v_dual_fmac_f32 v65, 0x3ee1c552, v60 :: v_dual_fmac_f32 v94, 0x3ee1c552, v43
	v_sub_f32_e32 v46, v46, v91
	v_fma_f32 v54, 0x3f3bfb3b, v99, -v101
	v_dual_fmac_f32 v63, 0x3ee1c552, v60 :: v_dual_add_f32 v60, v50, v41
	v_fmamk_f32 v37, v55, 0x3d64c772, v51
	v_fma_f32 v51, 0xbf3bfb3b, v99, -v51
	v_fma_f32 v99, 0xbeae86e6, v39, -v106
	v_fmamk_f32 v39, v49, 0xbf955555, v33
	v_add_f32_e32 v59, v54, v42
	v_sub_f32_e32 v54, v58, v96
	v_mad_co_u64_u32 v[28:29], null, v108, 48, s[0:1]
	v_fmac_f32_e32 v99, 0x3ee1c552, v43
	v_add_f32_e32 v43, v45, v38
	v_add_f32_e32 v45, v61, v39
	;; [unrolled: 1-line block ×3, first 2 shown]
	v_dual_add_f32 v61, v51, v42 :: v_dual_add_f32 v38, v92, v48
	v_sub_f32_e32 v44, v48, v92
	v_add_f32_e32 v48, v94, v62
	v_dual_add_f32 v50, v99, v60 :: v_dual_fmac_f32 v93, 0x3ee1c552, v97
	v_sub_f32_e32 v62, v62, v94
	v_dual_add_f32 v97, v37, v42 :: v_dual_add_f32 v42, v66, v43
	v_add_f32_e32 v47, v47, v39
	v_sub_f32_e32 v40, v43, v66
	v_dual_add_f32 v58, v96, v58 :: v_dual_add_f32 v41, v65, v45
	v_sub_f32_e32 v60, v60, v99
	s_delay_alu instid0(VALU_DEP_4)
	v_sub_f32_e32 v37, v47, v63
	v_sub_f32_e32 v39, v49, v67
	;; [unrolled: 1-line block ×3, first 2 shown]
	v_add_f32_e32 v45, v67, v49
	v_add_f32_e32 v47, v63, v47
	v_sub_f32_e32 v49, v97, v93
	v_sub_f32_e32 v51, v61, v98
	v_add_f32_e32 v55, v95, v59
	v_sub_f32_e32 v59, v59, v95
	v_add_f32_e32 v61, v98, v61
	v_add_f32_e32 v63, v93, v97
	ds_store_2addr_b64 v111, v[32:33], v[36:37] offset1:9
	ds_store_2addr_b64 v111, v[38:39], v[40:41] offset0:18 offset1:27
	ds_store_2addr_b64 v111, v[42:43], v[44:45] offset0:36 offset1:45
	ds_store_b64 v111, v[46:47] offset:432
	ds_store_2addr_b64 v110, v[34:35], v[48:49] offset1:9
	ds_store_2addr_b64 v110, v[50:51], v[54:55] offset0:18 offset1:27
	ds_store_2addr_b64 v110, v[58:59], v[60:61] offset0:36 offset1:45
	ds_store_b64 v110, v[62:63] offset:432
	global_wb scope:SCOPE_SE
	s_wait_dscnt 0x0
	s_barrier_signal -1
	s_barrier_wait -1
	global_inv scope:SCOPE_SE
	s_clause 0x2
	global_load_b128 v[40:43], v[28:29], off offset:432
	global_load_b128 v[36:39], v[28:29], off offset:448
	;; [unrolled: 1-line block ×3, first 2 shown]
	ds_load_2addr_b64 v[44:47], v107 offset0:126 offset1:189
	ds_load_2addr_b64 v[48:51], v57 offset0:124 offset1:187
	;; [unrolled: 1-line block ×6, first 2 shown]
	v_mul_i32_i24_e32 v54, 0xffffffd8, v108
	v_mul_hi_i32_i24_e32 v55, 0xffffffd8, v108
	ds_load_2addr_b64 v[103:106], v107 offset1:63
	global_wb scope:SCOPE_SE
	s_wait_loadcnt_dscnt 0x0
	s_barrier_signal -1
	v_add_co_u32 v28, s0, v28, v54
	s_wait_alu 0xf1ff
	v_add_co_ci_u32_e64 v29, s0, v29, v55, s0
	s_barrier_wait -1
	global_inv scope:SCOPE_SE
	s_add_nc_u64 s[0:1], s[12:13], 0x1b90
	v_dual_mul_f32 v119, v46, v41 :: v_dual_mul_f32 v120, v51, v43
	v_dual_mul_f32 v121, v50, v43 :: v_dual_mul_f32 v122, v61, v37
	v_mul_f32_e32 v124, v94, v39
	v_dual_mul_f32 v118, v47, v41 :: v_dual_mul_f32 v125, v93, v39
	s_delay_alu instid0(VALU_DEP_4)
	v_fmac_f32_e32 v119, v47, v40
	v_fma_f32 v47, v50, v42, -v120
	v_fmac_f32_e32 v121, v51, v42
	v_fma_f32 v50, v60, v36, -v122
	v_fma_f32 v51, v93, v38, -v124
	v_mul_f32_e32 v55, v44, v41
	v_dual_mul_f32 v66, v58, v37 :: v_dual_mul_f32 v113, v91, v39
	v_mul_f32_e32 v117, v99, v35
	v_fmac_f32_e32 v125, v94, v38
	v_add_f32_e32 v94, v50, v51
	v_mul_f32_e32 v129, v101, v35
	v_mul_f32_e32 v62, v49, v43
	v_dual_mul_f32 v67, v92, v39 :: v_dual_mul_f32 v126, v98, v33
	v_dual_fmac_f32 v66, v59, v36 :: v_dual_fmac_f32 v117, v100, v34
	s_delay_alu instid0(VALU_DEP_4)
	v_fmac_f32_e32 v129, v102, v34
	v_dual_mul_f32 v63, v48, v43 :: v_dual_sub_f32 v50, v51, v50
	v_fmac_f32_e32 v55, v45, v40
	v_dual_fmac_f32 v113, v92, v38 :: v_dual_mul_f32 v54, v45, v41
	v_mul_f32_e32 v116, v100, v35
	v_fma_f32 v45, v48, v42, -v62
	v_fmac_f32_e32 v63, v49, v42
	v_fma_f32 v49, v91, v38, -v67
	v_add_f32_e32 v62, v55, v117
	v_add_f32_e32 v67, v66, v113
	v_mul_f32_e32 v65, v59, v37
	v_fma_f32 v59, v97, v32, -v126
	v_mul_f32_e32 v123, v60, v37
	v_fma_f32 v44, v44, v40, -v54
	;; [unrolled: 2-line block ×3, first 2 shown]
	v_fma_f32 v58, v99, v34, -v116
	v_add_f32_e32 v92, v47, v59
	v_sub_f32_e32 v47, v47, v59
	v_dual_mul_f32 v128, v102, v35 :: v_dual_fmac_f32 v123, v61, v36
	v_fma_f32 v54, v95, v32, -v114
	v_fma_f32 v46, v46, v40, -v118
	s_delay_alu instid0(VALU_DEP_4) | instskip(SKIP_4) | instid1(VALU_DEP_4)
	v_dual_sub_f32 v120, v50, v47 :: v_dual_add_f32 v61, v44, v58
	v_dual_sub_f32 v44, v44, v58 :: v_dual_mul_f32 v115, v95, v33
	v_fma_f32 v60, v101, v34, -v128
	v_add_f32_e32 v58, v45, v54
	v_dual_sub_f32 v45, v45, v54 :: v_dual_add_f32 v118, v50, v47
	v_fmac_f32_e32 v115, v96, v32
	v_mul_f32_e32 v120, 0xbf08b237, v120
	s_delay_alu instid0(VALU_DEP_4) | instskip(NEXT) | instid1(VALU_DEP_3)
	v_add_f32_e32 v96, v58, v61
	v_dual_sub_f32 v114, v45, v44 :: v_dual_add_f32 v65, v63, v115
	v_dual_sub_f32 v54, v63, v115 :: v_dual_add_f32 v63, v48, v49
	v_sub_f32_e32 v48, v49, v48
	v_dual_sub_f32 v49, v113, v66 :: v_dual_add_f32 v66, v46, v60
	v_sub_f32_e32 v46, v46, v60
	s_delay_alu instid0(VALU_DEP_3) | instskip(SKIP_1) | instid1(VALU_DEP_4)
	v_add_f32_e32 v100, v48, v45
	v_sub_f32_e32 v102, v48, v45
	v_add_f32_e32 v45, v92, v66
	v_sub_f32_e32 v116, v92, v66
	v_sub_f32_e32 v66, v66, v94
	v_dual_sub_f32 v92, v94, v92 :: v_dual_add_f32 v101, v49, v54
	s_delay_alu instid0(VALU_DEP_4)
	v_add_f32_e32 v94, v94, v45
	v_sub_f32_e32 v55, v55, v117
	v_mul_f32_e32 v127, v97, v33
	v_sub_f32_e32 v113, v49, v54
	v_sub_f32_e32 v122, v47, v46
	v_mul_f32_e32 v66, 0x3f4a47b2, v66
	v_sub_f32_e32 v54, v54, v55
	v_fmac_f32_e32 v127, v98, v32
	v_dual_sub_f32 v98, v58, v61 :: v_dual_sub_f32 v61, v61, v63
	v_add_f32_e32 v97, v65, v62
	v_dual_sub_f32 v99, v65, v62 :: v_dual_sub_f32 v62, v62, v67
	s_delay_alu instid0(VALU_DEP_3) | instskip(SKIP_1) | instid1(VALU_DEP_3)
	v_dual_sub_f32 v58, v63, v58 :: v_dual_mul_f32 v47, 0x3f4a47b2, v61
	v_dual_sub_f32 v51, v125, v123 :: v_dual_sub_f32 v48, v44, v48
	v_mul_f32_e32 v61, 0x3f4a47b2, v62
	s_delay_alu instid0(VALU_DEP_3) | instskip(NEXT) | instid1(VALU_DEP_4)
	v_mul_f32_e32 v62, 0x3d64c772, v58
	v_dual_fmamk_f32 v58, v58, 0x3d64c772, v47 :: v_dual_add_f32 v63, v63, v96
	v_add_f32_e32 v96, v100, v44
	v_dual_mul_f32 v100, 0xbf08b237, v102 :: v_dual_add_f32 v91, v119, v129
	v_sub_f32_e32 v60, v119, v129
	s_delay_alu instid0(VALU_DEP_4) | instskip(SKIP_4) | instid1(VALU_DEP_4)
	v_add_f32_e32 v44, v103, v63
	v_sub_f32_e32 v59, v121, v127
	v_dual_add_f32 v93, v121, v127 :: v_dual_mul_f32 v102, 0x3f5ff5aa, v114
	v_fma_f32 v62, 0x3f3bfb3b, v98, -v62
	v_fma_f32 v98, 0xbf3bfb3b, v98, -v47
	v_add_f32_e32 v119, v51, v59
	s_delay_alu instid0(VALU_DEP_4)
	v_add_f32_e32 v115, v93, v91
	v_sub_f32_e32 v121, v51, v59
	v_sub_f32_e32 v51, v60, v51
	;; [unrolled: 1-line block ×3, first 2 shown]
	v_add_f32_e32 v60, v119, v60
	v_fma_f32 v102, 0xbeae86e6, v48, -v102
	v_add_f32_e32 v95, v123, v125
	v_sub_f32_e32 v117, v93, v91
	v_mul_f32_e32 v121, 0xbf08b237, v121
	v_mul_f32_e32 v124, 0x3f5ff5aa, v59
	s_delay_alu instid0(VALU_DEP_4)
	v_dual_fmac_f32 v102, 0x3ee1c552, v96 :: v_dual_sub_f32 v91, v91, v95
	v_sub_f32_e32 v93, v95, v93
	v_add_f32_e32 v95, v95, v115
	v_add_f32_e32 v115, v118, v46
	v_sub_f32_e32 v65, v67, v65
	v_add_f32_e32 v67, v67, v97
	v_mul_f32_e32 v119, 0x3d64c772, v93
	v_dual_add_f32 v47, v106, v95 :: v_dual_mul_f32 v118, 0x3d64c772, v92
	s_delay_alu instid0(VALU_DEP_4)
	v_mul_f32_e32 v97, 0x3d64c772, v65
	v_fmamk_f32 v65, v65, 0x3d64c772, v61
	v_fma_f32 v61, 0xbf3bfb3b, v99, -v61
	v_sub_f32_e32 v50, v46, v50
	v_mul_f32_e32 v123, 0x3f5ff5aa, v122
	v_fma_f32 v97, 0x3f3bfb3b, v99, -v97
	v_fmamk_f32 v99, v48, 0x3eae86e6, v100
	v_fma_f32 v100, 0x3f5ff5aa, v114, -v100
	v_fmamk_f32 v48, v92, 0x3d64c772, v66
	v_fma_f32 v92, 0x3f3bfb3b, v117, -v119
	v_fma_f32 v114, 0x3f5ff5aa, v59, -v121
	v_fmamk_f32 v59, v95, 0xbf955555, v47
	v_sub_f32_e32 v49, v55, v49
	v_fmac_f32_e32 v99, 0x3ee1c552, v96
	v_dual_fmac_f32 v100, 0x3ee1c552, v96 :: v_dual_add_f32 v45, v104, v67
	s_delay_alu instid0(VALU_DEP_4)
	v_add_f32_e32 v96, v92, v59
	v_add_f32_e32 v55, v101, v55
	v_mul_f32_e32 v101, 0xbf08b237, v113
	v_mul_f32_e32 v113, 0x3f5ff5aa, v54
	v_add_f32_e32 v46, v105, v94
	v_fma_f32 v66, 0xbf3bfb3b, v116, -v66
	v_fmamk_f32 v105, v50, 0x3eae86e6, v120
	v_fmamk_f32 v103, v49, 0x3eae86e6, v101
	v_fma_f32 v101, 0x3f5ff5aa, v54, -v101
	v_fma_f32 v104, 0xbeae86e6, v49, -v113
	v_fma_f32 v54, 0x3f3bfb3b, v116, -v118
	v_fma_f32 v116, 0xbeae86e6, v50, -v123
	v_fmamk_f32 v50, v63, 0xbf955555, v44
	v_fma_f32 v113, 0x3f5ff5aa, v122, -v120
	v_fmac_f32_e32 v103, 0x3ee1c552, v55
	v_fmac_f32_e32 v101, 0x3ee1c552, v55
	;; [unrolled: 1-line block ×3, first 2 shown]
	v_fmamk_f32 v55, v94, 0xbf955555, v46
	v_add_f32_e32 v63, v58, v50
	v_dual_add_f32 v58, v62, v50 :: v_dual_fmac_f32 v113, 0x3ee1c552, v115
	v_add_f32_e32 v62, v98, v50
	s_delay_alu instid0(VALU_DEP_4) | instskip(NEXT) | instid1(VALU_DEP_3)
	v_dual_add_f32 v95, v54, v55 :: v_dual_fmamk_f32 v106, v51, 0x3eae86e6, v121
	v_dual_sub_f32 v54, v58, v101 :: v_dual_mul_f32 v91, 0x3f4a47b2, v91
	s_delay_alu instid0(VALU_DEP_3)
	v_add_f32_e32 v50, v104, v62
	v_add_f32_e32 v58, v101, v58
	;; [unrolled: 1-line block ×3, first 2 shown]
	v_fmac_f32_e32 v106, 0x3ee1c552, v60
	v_fmamk_f32 v49, v93, 0x3d64c772, v91
	v_fma_f32 v91, 0xbf3bfb3b, v117, -v91
	v_fma_f32 v117, 0xbeae86e6, v51, -v124
	v_fmamk_f32 v51, v67, 0xbf955555, v45
	v_dual_fmac_f32 v114, 0x3ee1c552, v60 :: v_dual_fmac_f32 v105, 0x3ee1c552, v115
	s_delay_alu instid0(VALU_DEP_3) | instskip(NEXT) | instid1(VALU_DEP_3)
	v_dual_fmac_f32 v116, 0x3ee1c552, v115 :: v_dual_fmac_f32 v117, 0x3ee1c552, v60
	v_add_f32_e32 v65, v65, v51
	v_add_f32_e32 v60, v97, v51
	;; [unrolled: 1-line block ×8, first 2 shown]
	v_sub_f32_e32 v49, v65, v99
	v_sub_f32_e32 v51, v61, v102
	v_add_f32_e32 v55, v100, v60
	v_sub_f32_e32 v59, v60, v100
	v_sub_f32_e32 v60, v62, v104
	v_dual_add_f32 v61, v102, v61 :: v_dual_sub_f32 v62, v63, v103
	v_add_f32_e32 v63, v99, v65
	v_dual_add_f32 v65, v106, v67 :: v_dual_sub_f32 v66, v115, v105
	v_dual_add_f32 v91, v117, v97 :: v_dual_sub_f32 v92, v98, v116
	v_sub_f32_e32 v93, v95, v114
	v_dual_add_f32 v95, v114, v95 :: v_dual_sub_f32 v96, v96, v113
	v_dual_sub_f32 v97, v97, v117 :: v_dual_add_f32 v98, v116, v98
	v_dual_sub_f32 v99, v67, v106 :: v_dual_add_f32 v100, v105, v115
	ds_store_2addr_b64 v107, v[44:45], v[48:49] offset1:63
	ds_store_2addr_b64 v107, v[50:51], v[54:55] offset0:126 offset1:189
	ds_store_2addr_b64 v57, v[58:59], v[60:61] offset0:124 offset1:187
	;; [unrolled: 1-line block ×6, first 2 shown]
	global_wb scope:SCOPE_SE
	s_wait_dscnt 0x0
	s_barrier_signal -1
	s_barrier_wait -1
	global_inv scope:SCOPE_SE
	s_clause 0x6
	global_load_b64 v[103:104], v[28:29], off offset:3456
	global_load_b64 v[95:96], v[28:29], off offset:3960
	;; [unrolled: 1-line block ×7, first 2 shown]
	ds_load_2addr_b64 v[58:61], v56 offset0:122 offset1:185
	ds_load_2addr_b64 v[44:47], v52 offset0:120 offset1:183
	;; [unrolled: 1-line block ×4, first 2 shown]
	ds_load_2addr_b64 v[117:120], v107 offset1:63
	ds_load_2addr_b64 v[121:124], v107 offset0:126 offset1:189
	ds_load_2addr_b64 v[125:128], v57 offset0:124 offset1:187
	s_wait_loadcnt_dscnt 0x606
	v_mul_f32_e32 v28, v61, v104
	v_mul_f32_e32 v29, v60, v104
	s_wait_loadcnt_dscnt 0x505
	v_mul_f32_e32 v54, v45, v96
	s_wait_loadcnt 0x4
	v_dual_mul_f32 v62, v44, v96 :: v_dual_mul_f32 v55, v47, v98
	v_mul_f32_e32 v63, v46, v98
	s_wait_loadcnt_dscnt 0x304
	v_mul_f32_e32 v65, v49, v102
	v_mul_f32_e32 v66, v48, v102
	s_wait_loadcnt 0x2
	v_mul_f32_e32 v67, v51, v94
	v_mul_f32_e32 v105, v50, v94
	s_wait_loadcnt_dscnt 0x103
	v_mul_f32_e32 v106, v114, v100
	v_mul_f32_e32 v129, v113, v100
	s_wait_loadcnt 0x0
	v_mul_f32_e32 v130, v116, v92
	v_mul_f32_e32 v131, v115, v92
	v_fma_f32 v28, v60, v103, -v28
	v_fmac_f32_e32 v29, v61, v103
	v_fma_f32 v44, v44, v95, -v54
	v_fmac_f32_e32 v62, v45, v95
	;; [unrolled: 2-line block ×6, first 2 shown]
	v_fma_f32 v50, v115, v91, -v130
	s_wait_dscnt 0x2
	v_dual_fmac_f32 v131, v116, v91 :: v_dual_sub_f32 v54, v117, v28
	v_dual_sub_f32 v55, v118, v29 :: v_dual_sub_f32 v60, v119, v44
	s_wait_dscnt 0x1
	v_dual_sub_f32 v61, v120, v62 :: v_dual_sub_f32 v62, v121, v45
	v_sub_f32_e32 v63, v122, v63
	v_sub_f32_e32 v65, v123, v46
	;; [unrolled: 1-line block ×3, first 2 shown]
	s_wait_dscnt 0x0
	v_dual_sub_f32 v44, v125, v47 :: v_dual_sub_f32 v45, v126, v105
	v_dual_sub_f32 v48, v127, v48 :: v_dual_sub_f32 v49, v128, v129
	v_dual_sub_f32 v28, v58, v50 :: v_dual_sub_f32 v29, v59, v131
	v_fma_f32 v105, v117, 2.0, -v54
	v_fma_f32 v106, v118, 2.0, -v55
	v_fma_f32 v113, v119, 2.0, -v60
	v_fma_f32 v114, v120, 2.0, -v61
	v_fma_f32 v115, v121, 2.0, -v62
	v_fma_f32 v116, v122, 2.0, -v63
	v_fma_f32 v117, v123, 2.0, -v65
	v_fma_f32 v118, v124, 2.0, -v66
	v_fma_f32 v119, v125, 2.0, -v44
	v_fma_f32 v120, v126, 2.0, -v45
	v_fma_f32 v46, v127, 2.0, -v48
	v_fma_f32 v47, v128, 2.0, -v49
	v_fma_f32 v50, v58, 2.0, -v28
	v_fma_f32 v51, v59, 2.0, -v29
	ds_store_2addr_b64 v52, v[60:61], v[62:63] offset0:120 offset1:183
	ds_store_2addr_b64 v64, v[65:66], v[44:45] offset0:118 offset1:181
	;; [unrolled: 1-line block ×3, first 2 shown]
	ds_store_2addr_b64 v107, v[105:106], v[113:114] offset1:63
	ds_store_2addr_b64 v107, v[115:116], v[117:118] offset0:126 offset1:189
	ds_store_2addr_b64 v57, v[119:120], v[46:47] offset0:124 offset1:187
	;; [unrolled: 1-line block ×3, first 2 shown]
	global_wb scope:SCOPE_SE
	s_wait_dscnt 0x0
	s_barrier_signal -1
	s_barrier_wait -1
	global_inv scope:SCOPE_SE
	s_clause 0x8
	global_load_b64 v[53:54], v[68:69], off offset:7056
	global_load_b64 v[62:63], v107, s[0:1] offset:784
	global_load_b64 v[65:66], v107, s[0:1] offset:1568
	global_load_b64 v[105:106], v107, s[0:1] offset:2352
	global_load_b64 v[121:122], v107, s[0:1] offset:3136
	global_load_b64 v[123:124], v107, s[0:1] offset:3920
	global_load_b64 v[125:126], v107, s[0:1] offset:4704
	global_load_b64 v[127:128], v107, s[0:1] offset:5488
	global_load_b64 v[129:130], v107, s[0:1] offset:6272
	ds_load_2addr_b64 v[58:61], v107 offset1:98
	s_wait_loadcnt_dscnt 0x800
	v_mul_f32_e32 v67, v59, v54
	v_mul_f32_e32 v55, v58, v54
	s_wait_loadcnt 0x7
	v_mul_f32_e32 v113, v61, v63
	v_mul_f32_e32 v114, v60, v63
	v_fma_f32 v54, v58, v53, -v67
	v_fmac_f32_e32 v55, v59, v53
	s_delay_alu instid0(VALU_DEP_4) | instskip(NEXT) | instid1(VALU_DEP_4)
	v_fma_f32 v113, v60, v62, -v113
	v_fmac_f32_e32 v114, v61, v62
	ds_store_2addr_b64 v107, v[54:55], v[113:114] offset1:98
	ds_load_2addr_b64 v[58:61], v57 offset0:68 offset1:166
	ds_load_2addr_b64 v[113:116], v56 offset0:136 offset1:234
	;; [unrolled: 1-line block ×3, first 2 shown]
	ds_load_b64 v[53:54], v107 offset:6272
	s_wait_loadcnt_dscnt 0x603
	v_mul_f32_e32 v55, v59, v66
	v_mul_f32_e32 v63, v58, v66
	s_wait_loadcnt 0x5
	v_mul_f32_e32 v67, v61, v106
	v_mul_f32_e32 v66, v60, v106
	s_wait_loadcnt_dscnt 0x402
	v_mul_f32_e32 v131, v114, v122
	v_mul_f32_e32 v106, v113, v122
	s_wait_loadcnt 0x3
	v_mul_f32_e32 v132, v116, v124
	s_wait_loadcnt_dscnt 0x201
	v_dual_mul_f32 v122, v115, v124 :: v_dual_mul_f32 v133, v118, v126
	v_mul_f32_e32 v124, v117, v126
	s_wait_loadcnt 0x1
	v_mul_f32_e32 v134, v120, v128
	s_wait_loadcnt_dscnt 0x0
	v_dual_mul_f32 v126, v119, v128 :: v_dual_mul_f32 v135, v54, v130
	v_mul_f32_e32 v128, v53, v130
	v_fma_f32 v62, v58, v65, -v55
	s_delay_alu instid0(VALU_DEP_3)
	v_dual_fmac_f32 v63, v59, v65 :: v_dual_fmac_f32 v126, v120, v127
	v_fma_f32 v65, v60, v105, -v67
	v_fmac_f32_e32 v66, v61, v105
	v_fma_f32 v105, v113, v121, -v131
	v_fmac_f32_e32 v106, v114, v121
	;; [unrolled: 2-line block ×4, first 2 shown]
	v_fma_f32 v125, v119, v127, -v134
	v_fma_f32 v127, v53, v129, -v135
	v_fmac_f32_e32 v128, v54, v129
	ds_store_2addr_b64 v57, v[62:63], v[65:66] offset0:68 offset1:166
	ds_store_2addr_b64 v56, v[105:106], v[121:122] offset0:136 offset1:234
	;; [unrolled: 1-line block ×3, first 2 shown]
	ds_store_b64 v107, v[127:128] offset:6272
	s_and_saveexec_b32 s2, vcc_lo
	s_cbranch_execz .LBB0_9
; %bb.8:
	s_wait_alu 0xfffe
	v_add_co_u32 v53, s0, s0, v107
	s_wait_alu 0xf1ff
	v_add_co_ci_u32_e64 v54, null, s1, 0, s0
	s_clause 0x8
	global_load_b64 v[62:63], v[53:54], off offset:504
	global_load_b64 v[65:66], v[53:54], off offset:1288
	;; [unrolled: 1-line block ×9, first 2 shown]
	ds_load_2addr_b64 v[58:61], v107 offset0:63 offset1:161
	s_wait_loadcnt_dscnt 0x800
	v_mul_f32_e32 v55, v59, v63
	v_mul_f32_e32 v67, v58, v63
	s_wait_loadcnt 0x7
	v_mul_f32_e32 v113, v61, v66
	v_mul_f32_e32 v63, v60, v66
	v_fma_f32 v66, v58, v62, -v55
	v_fmac_f32_e32 v67, v59, v62
	s_delay_alu instid0(VALU_DEP_4) | instskip(NEXT) | instid1(VALU_DEP_4)
	v_fma_f32 v62, v60, v65, -v113
	v_fmac_f32_e32 v63, v61, v65
	ds_store_2addr_b64 v107, v[66:67], v[62:63] offset0:63 offset1:161
	ds_load_2addr_b64 v[58:61], v56 offset0:3 offset1:101
	ds_load_2addr_b64 v[113:116], v52 offset0:71 offset1:169
	;; [unrolled: 1-line block ×3, first 2 shown]
	ds_load_b64 v[62:63], v107 offset:6776
	s_wait_loadcnt_dscnt 0x503
	v_mul_f32_e32 v67, v61, v122
	s_wait_loadcnt_dscnt 0x402
	v_dual_mul_f32 v66, v60, v122 :: v_dual_mul_f32 v131, v114, v124
	s_wait_loadcnt 0x3
	v_mul_f32_e32 v122, v115, v126
	v_mul_f32_e32 v132, v116, v126
	s_wait_loadcnt_dscnt 0x101
	v_mul_f32_e32 v126, v119, v130
	v_mul_f32_e32 v65, v59, v106
	v_dual_mul_f32 v55, v58, v106 :: v_dual_mul_f32 v106, v113, v124
	v_mul_f32_e32 v124, v117, v128
	s_delay_alu instid0(VALU_DEP_4)
	v_dual_fmac_f32 v126, v120, v129 :: v_dual_mul_f32 v133, v118, v128
	v_mul_f32_e32 v134, v120, v130
	s_wait_loadcnt_dscnt 0x0
	v_mul_f32_e32 v130, v63, v54
	v_dual_mul_f32 v128, v62, v54 :: v_dual_fmac_f32 v55, v59, v105
	v_fmac_f32_e32 v66, v61, v121
	v_fmac_f32_e32 v122, v116, v125
	v_fma_f32 v54, v58, v105, -v65
	v_fmac_f32_e32 v124, v118, v127
	v_fma_f32 v65, v60, v121, -v67
	v_fma_f32 v105, v113, v123, -v131
	v_fmac_f32_e32 v106, v114, v123
	v_fma_f32 v121, v115, v125, -v132
	v_fma_f32 v123, v117, v127, -v133
	;; [unrolled: 1-line block ×4, first 2 shown]
	v_fmac_f32_e32 v128, v63, v53
	ds_store_2addr_b64 v56, v[54:55], v[65:66] offset0:3 offset1:101
	ds_store_2addr_b64 v52, v[105:106], v[121:122] offset0:71 offset1:169
	;; [unrolled: 1-line block ×3, first 2 shown]
	ds_store_b64 v107, v[127:128] offset:6776
.LBB0_9:
	s_wait_alu 0xfffe
	s_or_b32 exec_lo, exec_lo, s2
	global_wb scope:SCOPE_SE
	s_wait_dscnt 0x0
	s_barrier_signal -1
	s_barrier_wait -1
	global_inv scope:SCOPE_SE
	ds_load_2addr_b64 v[52:55], v107 offset1:98
	ds_load_2addr_b64 v[60:63], v57 offset0:68 offset1:166
	ds_load_2addr_b64 v[56:59], v56 offset0:136 offset1:234
	;; [unrolled: 1-line block ×3, first 2 shown]
	ds_load_b64 v[105:106], v107 offset:6272
	s_and_saveexec_b32 s0, vcc_lo
	s_cbranch_execz .LBB0_11
; %bb.10:
	v_add_nc_u32_e32 v24, 0x800, v107
	v_add_nc_u32_e32 v25, 0xc00, v107
	v_add_nc_u32_e32 v26, 0x1000, v107
	ds_load_2addr_b64 v[44:47], v107 offset0:63 offset1:161
	ds_load_2addr_b64 v[48:51], v24 offset0:3 offset1:101
	;; [unrolled: 1-line block ×4, first 2 shown]
	ds_load_b64 v[89:90], v107 offset:6776
.LBB0_11:
	s_wait_alu 0xfffe
	s_or_b32 exec_lo, exec_lo, s0
	s_wait_dscnt 0x0
	v_dual_sub_f32 v113, v54, v105 :: v_dual_sub_f32 v114, v55, v106
	v_dual_add_f32 v105, v54, v105 :: v_dual_add_f32 v106, v55, v106
	s_delay_alu instid0(VALU_DEP_2) | instskip(NEXT) | instid1(VALU_DEP_3)
	v_dual_sub_f32 v115, v60, v66 :: v_dual_mul_f32 v116, 0x3f248dbb, v113
	v_dual_sub_f32 v117, v61, v67 :: v_dual_mul_f32 v118, 0x3f248dbb, v114
	v_dual_add_f32 v119, v60, v66 :: v_dual_sub_f32 v120, v62, v64
	s_delay_alu instid0(VALU_DEP_4)
	v_dual_fmamk_f32 v54, v105, 0x3f441b7d, v52 :: v_dual_add_f32 v127, v56, v58
	v_sub_f32_e32 v124, v56, v58
	v_dual_fmac_f32 v116, 0x3f7c1c5c, v115 :: v_dual_sub_f32 v121, v63, v65
	v_dual_fmac_f32 v118, 0x3f7c1c5c, v117 :: v_dual_add_f32 v123, v62, v64
	v_dual_add_f32 v122, v61, v67 :: v_dual_fmamk_f32 v55, v106, 0x3f441b7d, v53
	v_fmac_f32_e32 v54, 0x3e31d0d4, v119
	v_fmamk_f32 v61, v127, 0x3f441b7d, v52
	v_dual_add_f32 v126, v63, v65 :: v_dual_mul_f32 v65, 0xbf248dbb, v124
	s_delay_alu instid0(VALU_DEP_4) | instskip(SKIP_1) | instid1(VALU_DEP_3)
	v_dual_add_f32 v128, v57, v59 :: v_dual_fmac_f32 v55, 0x3e31d0d4, v122
	v_dual_fmac_f32 v116, 0x3f5db3d7, v120 :: v_dual_sub_f32 v125, v57, v59
	v_dual_fmac_f32 v65, 0x3f7c1c5c, v113 :: v_dual_fmac_f32 v54, -0.5, v123
	s_delay_alu instid0(VALU_DEP_3) | instskip(NEXT) | instid1(VALU_DEP_4)
	v_fmamk_f32 v63, v128, 0x3f441b7d, v53
	v_dual_fmac_f32 v118, 0x3f5db3d7, v121 :: v_dual_fmac_f32 v55, -0.5, v126
	s_delay_alu instid0(VALU_DEP_3) | instskip(NEXT) | instid1(VALU_DEP_4)
	v_fmac_f32_e32 v65, 0xbf5db3d7, v120
	v_fmac_f32_e32 v54, 0xbf708fb2, v127
	s_delay_alu instid0(VALU_DEP_4) | instskip(NEXT) | instid1(VALU_DEP_4)
	v_fmac_f32_e32 v63, 0x3e31d0d4, v106
	v_fmac_f32_e32 v118, 0x3eaf1d44, v125
	;; [unrolled: 1-line block ×3, first 2 shown]
	v_dual_fmac_f32 v65, 0x3eaf1d44, v115 :: v_dual_add_f32 v66, v124, v113
	s_delay_alu instid0(VALU_DEP_4) | instskip(NEXT) | instid1(VALU_DEP_4)
	v_fmac_f32_e32 v63, -0.5, v126
	v_dual_fmac_f32 v61, 0x3e31d0d4, v105 :: v_dual_sub_f32 v54, v54, v118
	v_dual_fmac_f32 v116, 0x3eaf1d44, v124 :: v_dual_add_f32 v67, v125, v114
	s_delay_alu instid0(VALU_DEP_3) | instskip(NEXT) | instid1(VALU_DEP_3)
	v_fmac_f32_e32 v63, 0xbf708fb2, v122
	v_dual_fmac_f32 v61, -0.5, v123 :: v_dual_mul_f32 v64, 0xbf248dbb, v125
	s_delay_alu instid0(VALU_DEP_3) | instskip(SKIP_1) | instid1(VALU_DEP_4)
	v_add_f32_e32 v55, v116, v55
	v_fma_f32 v60, 2.0, v118, v54
	v_add_f32_e32 v63, v65, v63
	s_delay_alu instid0(VALU_DEP_4) | instskip(SKIP_4) | instid1(VALU_DEP_4)
	v_fmac_f32_e32 v61, 0xbf708fb2, v119
	v_fmac_f32_e32 v64, 0x3f7c1c5c, v114
	v_dual_sub_f32 v118, v66, v115 :: v_dual_sub_f32 v129, v67, v117
	v_add_f32_e32 v130, v122, v106
	v_mul_f32_e32 v124, 0x3f7c1c5c, v124
	v_fmac_f32_e32 v64, 0xbf5db3d7, v121
	v_dual_add_f32 v66, v123, v52 :: v_dual_add_f32 v67, v126, v53
	s_delay_alu instid0(VALU_DEP_4) | instskip(NEXT) | instid1(VALU_DEP_4)
	v_add_f32_e32 v133, v128, v130
	v_fma_f32 v115, 0xbf248dbb, v115, -v124
	s_delay_alu instid0(VALU_DEP_4) | instskip(SKIP_1) | instid1(VALU_DEP_4)
	v_fmac_f32_e32 v64, 0x3eaf1d44, v117
	v_fmamk_f32 v122, v122, 0x3f441b7d, v53
	v_dual_mul_f32 v132, 0x3f5db3d7, v118 :: v_dual_fmac_f32 v67, -0.5, v133
	s_delay_alu instid0(VALU_DEP_3) | instskip(NEXT) | instid1(VALU_DEP_3)
	v_dual_mul_f32 v125, 0x3f7c1c5c, v125 :: v_dual_sub_f32 v62, v61, v64
	v_fmac_f32_e32 v122, 0x3e31d0d4, v128
	v_fma_f32 v61, -2.0, v116, v55
	v_add_f32_e32 v116, v119, v105
	v_fmamk_f32 v119, v119, 0x3f441b7d, v52
	s_delay_alu instid0(VALU_DEP_4) | instskip(SKIP_1) | instid1(VALU_DEP_4)
	v_dual_fmac_f32 v115, 0x3f5db3d7, v120 :: v_dual_fmac_f32 v122, -0.5, v126
	v_fma_f32 v117, 0xbf248dbb, v117, -v125
	v_add_f32_e32 v131, v127, v116
	s_delay_alu instid0(VALU_DEP_4) | instskip(NEXT) | instid1(VALU_DEP_4)
	v_fmac_f32_e32 v119, 0x3e31d0d4, v127
	v_fmac_f32_e32 v115, 0x3eaf1d44, v113
	v_dual_add_f32 v113, v123, v116 :: v_dual_add_f32 v116, v126, v130
	s_delay_alu instid0(VALU_DEP_4) | instskip(NEXT) | instid1(VALU_DEP_4)
	v_fmac_f32_e32 v66, -0.5, v131
	v_dual_fmac_f32 v119, -0.5, v123 :: v_dual_fmac_f32 v122, 0xbf708fb2, v106
	s_delay_alu instid0(VALU_DEP_3) | instskip(SKIP_1) | instid1(VALU_DEP_4)
	v_add_f32_e32 v113, v56, v113
	v_mul_f32_e32 v131, 0x3f5db3d7, v129
	v_fmac_f32_e32 v66, 0xbf5db3d7, v129
	s_delay_alu instid0(VALU_DEP_4)
	v_fmac_f32_e32 v119, 0xbf708fb2, v105
	v_fma_f32 v64, 2.0, v64, v62
	v_add_f32_e32 v105, v58, v113
	v_fmac_f32_e32 v117, 0x3f5db3d7, v121
	v_fma_f32 v65, -2.0, v65, v63
	v_fma_f32 v56, 2.0, v131, v66
	global_wb scope:SCOPE_SE
	v_dual_add_f32 v52, v105, v52 :: v_dual_fmac_f32 v117, 0x3eaf1d44, v114
	v_add_f32_e32 v57, v57, v116
	s_barrier_signal -1
	s_barrier_wait -1
	global_inv scope:SCOPE_SE
	v_dual_sub_f32 v58, v119, v117 :: v_dual_fmac_f32 v67, 0x3f5db3d7, v118
	v_add_f32_e32 v106, v59, v57
	v_add_f32_e32 v59, v115, v122
	s_delay_alu instid0(VALU_DEP_3) | instskip(NEXT) | instid1(VALU_DEP_4)
	v_fma_f32 v105, 2.0, v117, v58
	v_fma_f32 v57, -2.0, v132, v67
	s_delay_alu instid0(VALU_DEP_4) | instskip(NEXT) | instid1(VALU_DEP_4)
	v_add_f32_e32 v53, v106, v53
	v_fma_f32 v106, -2.0, v115, v59
	ds_store_2addr_b64 v112, v[52:53], v[54:55] offset1:1
	ds_store_2addr_b64 v112, v[62:63], v[66:67] offset0:2 offset1:3
	ds_store_2addr_b64 v112, v[58:59], v[105:106] offset0:4 offset1:5
	;; [unrolled: 1-line block ×3, first 2 shown]
	ds_store_b64 v112, v[60:61] offset:64
	s_and_saveexec_b32 s0, vcc_lo
	s_cbranch_execz .LBB0_13
; %bb.12:
	v_dual_sub_f32 v52, v28, v30 :: v_dual_sub_f32 v53, v46, v89
	v_dual_sub_f32 v54, v50, v24 :: v_dual_add_f32 v55, v27, v49
	s_delay_alu instid0(VALU_DEP_2) | instskip(SKIP_1) | instid1(VALU_DEP_3)
	v_dual_sub_f32 v56, v48, v26 :: v_dual_mul_f32 v57, 0x3f7c1c5c, v52
	v_dual_add_f32 v58, v31, v29 :: v_dual_add_f32 v59, v25, v51
	v_dual_fmamk_f32 v60, v55, 0x3f441b7d, v45 :: v_dual_sub_f32 v61, v29, v31
	s_delay_alu instid0(VALU_DEP_3) | instskip(SKIP_1) | instid1(VALU_DEP_3)
	v_fma_f32 v57, 0xbf248dbb, v56, -v57
	v_add_f32_e32 v62, v90, v47
	v_dual_sub_f32 v49, v49, v27 :: v_dual_fmac_f32 v60, 0x3e31d0d4, v58
	s_delay_alu instid0(VALU_DEP_4) | instskip(NEXT) | instid1(VALU_DEP_4)
	v_mul_f32_e32 v27, 0x3f7c1c5c, v61
	v_dual_fmac_f32 v57, 0x3f5db3d7, v54 :: v_dual_add_f32 v48, v26, v48
	s_delay_alu instid0(VALU_DEP_3) | instskip(NEXT) | instid1(VALU_DEP_3)
	v_dual_sub_f32 v51, v51, v25 :: v_dual_fmac_f32 v60, -0.5, v59
	v_fma_f32 v26, 0xbf248dbb, v49, -v27
	s_delay_alu instid0(VALU_DEP_3) | instskip(NEXT) | instid1(VALU_DEP_4)
	v_dual_fmac_f32 v57, 0x3eaf1d44, v53 :: v_dual_add_f32 v64, v30, v28
	v_dual_fmamk_f32 v63, v48, 0x3f441b7d, v44 :: v_dual_add_f32 v46, v89, v46
	s_delay_alu instid0(VALU_DEP_3) | instskip(NEXT) | instid1(VALU_DEP_2)
	v_dual_sub_f32 v65, v47, v90 :: v_dual_fmac_f32 v26, 0x3f5db3d7, v51
	v_dual_add_f32 v50, v24, v50 :: v_dual_fmac_f32 v63, 0x3e31d0d4, v64
	v_add_f32_e32 v24, v55, v62
	v_fmac_f32_e32 v60, 0xbf708fb2, v62
	v_dual_add_f32 v66, v48, v46 :: v_dual_add_f32 v27, v59, v45
	s_delay_alu instid0(VALU_DEP_4) | instskip(NEXT) | instid1(VALU_DEP_4)
	v_dual_fmac_f32 v26, 0x3eaf1d44, v65 :: v_dual_fmac_f32 v63, -0.5, v50
	v_add_f32_e32 v47, v59, v24
	s_delay_alu instid0(VALU_DEP_3) | instskip(SKIP_1) | instid1(VALU_DEP_4)
	v_dual_add_f32 v25, v57, v60 :: v_dual_add_f32 v60, v50, v66
	v_dual_add_f32 v67, v52, v53 :: v_dual_add_f32 v24, v58, v24
	v_fmac_f32_e32 v63, 0xbf708fb2, v46
	s_delay_alu instid0(VALU_DEP_3) | instskip(NEXT) | instid1(VALU_DEP_3)
	v_dual_add_f32 v29, v29, v47 :: v_dual_add_f32 v28, v28, v60
	v_dual_add_f32 v66, v64, v66 :: v_dual_fmac_f32 v27, -0.5, v24
	s_delay_alu instid0(VALU_DEP_3) | instskip(NEXT) | instid1(VALU_DEP_3)
	v_sub_f32_e32 v24, v63, v26
	v_dual_add_f32 v31, v31, v29 :: v_dual_add_f32 v30, v30, v28
	v_sub_f32_e32 v47, v67, v56
	v_fma_f32 v29, -2.0, v57, v25
	s_delay_alu instid0(VALU_DEP_4) | instskip(NEXT) | instid1(VALU_DEP_4)
	v_fma_f32 v28, 2.0, v26, v24
	v_dual_add_f32 v31, v45, v31 :: v_dual_add_f32 v30, v44, v30
	s_delay_alu instid0(VALU_DEP_4) | instskip(SKIP_4) | instid1(VALU_DEP_4)
	v_dual_mul_f32 v60, 0x3f5db3d7, v47 :: v_dual_add_f32 v57, v61, v65
	v_dual_fmac_f32 v27, 0x3f5db3d7, v47 :: v_dual_add_f32 v26, v50, v44
	v_fmamk_f32 v63, v58, 0x3f441b7d, v45
	v_fmac_f32_e32 v45, 0x3f441b7d, v62
	v_mul_f32_e32 v67, 0xbf248dbb, v61
	v_dual_sub_f32 v57, v57, v49 :: v_dual_fmac_f32 v26, -0.5, v66
	v_fma_f32 v47, -2.0, v60, v27
	s_delay_alu instid0(VALU_DEP_4) | instskip(SKIP_1) | instid1(VALU_DEP_4)
	v_fmac_f32_e32 v45, 0x3e31d0d4, v55
	v_mul_f32_e32 v60, 0xbf248dbb, v52
	v_mul_f32_e32 v66, 0x3f5db3d7, v57
	v_fmac_f32_e32 v26, 0xbf5db3d7, v57
	v_fmamk_f32 v57, v64, 0x3f441b7d, v44
	v_fmac_f32_e32 v45, -0.5, v59
	s_delay_alu instid0(VALU_DEP_1) | instskip(SKIP_1) | instid1(VALU_DEP_1)
	v_fmac_f32_e32 v45, 0xbf708fb2, v58
	v_fmac_f32_e32 v44, 0x3f441b7d, v46
	v_dual_fmac_f32 v63, 0x3e31d0d4, v62 :: v_dual_fmac_f32 v44, 0x3e31d0d4, v48
	s_delay_alu instid0(VALU_DEP_1) | instskip(NEXT) | instid1(VALU_DEP_2)
	v_dual_fmac_f32 v60, 0x3f7c1c5c, v53 :: v_dual_fmac_f32 v63, -0.5, v59
	v_dual_fmac_f32 v67, 0x3f7c1c5c, v65 :: v_dual_fmac_f32 v44, -0.5, v50
	s_delay_alu instid0(VALU_DEP_2) | instskip(NEXT) | instid1(VALU_DEP_2)
	v_fmac_f32_e32 v60, 0xbf5db3d7, v54
	v_dual_fmac_f32 v63, 0xbf708fb2, v55 :: v_dual_fmac_f32 v44, 0xbf708fb2, v64
	v_mul_f32_e32 v62, 0x3f248dbb, v65
	s_delay_alu instid0(VALU_DEP_1) | instskip(NEXT) | instid1(VALU_DEP_1)
	v_fmac_f32_e32 v62, 0x3f7c1c5c, v49
	v_fmac_f32_e32 v62, 0x3f5db3d7, v51
	s_delay_alu instid0(VALU_DEP_1) | instskip(NEXT) | instid1(VALU_DEP_1)
	v_fmac_f32_e32 v62, 0x3eaf1d44, v61
	v_dual_fmac_f32 v67, 0xbf5db3d7, v51 :: v_dual_sub_f32 v44, v44, v62
	s_delay_alu instid0(VALU_DEP_1) | instskip(SKIP_1) | instid1(VALU_DEP_2)
	v_dual_fmac_f32 v60, 0x3eaf1d44, v56 :: v_dual_fmac_f32 v67, 0x3eaf1d44, v49
	v_mul_f32_e32 v53, 0x3f248dbb, v53
	v_add_f32_e32 v49, v60, v63
	s_delay_alu instid0(VALU_DEP_2) | instskip(NEXT) | instid1(VALU_DEP_2)
	v_fmac_f32_e32 v53, 0x3f7c1c5c, v56
	v_fma_f32 v51, -2.0, v60, v49
	s_delay_alu instid0(VALU_DEP_2) | instskip(SKIP_1) | instid1(VALU_DEP_2)
	v_dual_fmac_f32 v53, 0x3f5db3d7, v54 :: v_dual_lshlrev_b32 v54, 3, v109
	v_fmac_f32_e32 v57, 0x3e31d0d4, v46
	v_fmac_f32_e32 v53, 0x3eaf1d44, v52
	v_fma_f32 v52, 2.0, v62, v44
	s_delay_alu instid0(VALU_DEP_3) | instskip(SKIP_1) | instid1(VALU_DEP_4)
	v_fmac_f32_e32 v57, -0.5, v50
	v_fma_f32 v46, 2.0, v66, v26
	v_add_f32_e32 v45, v53, v45
	s_delay_alu instid0(VALU_DEP_3) | instskip(NEXT) | instid1(VALU_DEP_2)
	v_fmac_f32_e32 v57, 0xbf708fb2, v48
	v_fma_f32 v53, -2.0, v53, v45
	s_delay_alu instid0(VALU_DEP_2) | instskip(NEXT) | instid1(VALU_DEP_1)
	v_sub_f32_e32 v48, v57, v67
	v_fma_f32 v50, 2.0, v67, v48
	ds_store_2addr_b64 v54, v[30:31], v[44:45] offset1:1
	ds_store_2addr_b64 v54, v[48:49], v[26:27] offset0:2 offset1:3
	ds_store_2addr_b64 v54, v[24:25], v[28:29] offset0:4 offset1:5
	;; [unrolled: 1-line block ×3, first 2 shown]
	ds_store_b64 v54, v[52:53] offset:64
.LBB0_13:
	s_wait_alu 0xfffe
	s_or_b32 exec_lo, exec_lo, s0
	global_wb scope:SCOPE_SE
	s_wait_dscnt 0x0
	s_barrier_signal -1
	s_barrier_wait -1
	global_inv scope:SCOPE_SE
	ds_load_2addr_b64 v[44:47], v107 offset0:126 offset1:189
	v_add_nc_u32_e32 v27, 0x400, v107
	v_add_nc_u32_e32 v26, 0x800, v107
	;; [unrolled: 1-line block ×4, first 2 shown]
	s_mov_b32 s2, 0x5bb804a5
	ds_load_2addr_b64 v[48:51], v27 offset0:124 offset1:187
	s_mov_b32 s3, 0x3f529372
	s_wait_dscnt 0x1
	v_mul_f32_e32 v29, v21, v45
	v_mul_f32_e32 v21, v21, v44
	ds_load_2addr_b64 v[52:55], v26 offset0:122 offset1:185
	ds_load_2addr_b64 v[56:59], v25 offset0:120 offset1:183
	ds_load_2addr_b64 v[60:63], v24 offset0:118 offset1:181
	v_dual_fmac_f32 v29, v20, v44 :: v_dual_add_nc_u32 v28, 0x1400, v107
	ds_load_2addr_b64 v[64:67], v28 offset0:116 offset1:179
	ds_load_2addr_b64 v[112:115], v107 offset1:63
	v_fma_f32 v20, v20, v45, -v21
	global_wb scope:SCOPE_SE
	s_wait_dscnt 0x0
	s_barrier_signal -1
	s_barrier_wait -1
	global_inv scope:SCOPE_SE
	v_mul_f32_e32 v30, v17, v53
	v_mul_f32_e32 v21, v23, v49
	;; [unrolled: 1-line block ×5, first 2 shown]
	v_dual_mul_f32 v31, v19, v57 :: v_dual_fmac_f32 v30, v16, v52
	v_dual_fmac_f32 v21, v22, v48 :: v_dual_mul_f32 v48, v1, v63
	v_mul_f32_e32 v19, v19, v56
	v_fma_f32 v16, v16, v53, -v17
	v_fmac_f32_e32 v44, v12, v60
	s_delay_alu instid0(VALU_DEP_4) | instskip(NEXT) | instid1(VALU_DEP_4)
	v_dual_fmac_f32 v31, v18, v56 :: v_dual_fmac_f32 v48, v0, v62
	v_fma_f32 v17, v18, v57, -v19
	v_dual_mul_f32 v18, v15, v65 :: v_dual_mul_f32 v13, v13, v60
	v_mul_f32_e32 v19, v9, v47
	v_mul_f32_e32 v9, v9, v46
	v_fma_f32 v22, v22, v49, -v23
	s_delay_alu instid0(VALU_DEP_4)
	v_fmac_f32_e32 v18, v14, v64
	v_mul_f32_e32 v15, v15, v64
	v_fma_f32 v12, v12, v61, -v13
	v_fmac_f32_e32 v19, v8, v46
	v_mul_f32_e32 v23, v5, v55
	v_mul_f32_e32 v49, v3, v67
	v_fma_f32 v13, v14, v65, -v15
	v_fma_f32 v14, v8, v47, -v9
	v_mul_f32_e32 v15, v11, v51
	v_dual_mul_f32 v8, v11, v50 :: v_dual_sub_f32 v11, v17, v16
	v_mul_f32_e32 v1, v1, v62
	v_add_f32_e32 v9, v16, v17
	v_mul_f32_e32 v45, v7, v59
	s_delay_alu instid0(VALU_DEP_4)
	v_fma_f32 v46, v10, v51, -v8
	v_fmac_f32_e32 v49, v2, v66
	v_fma_f32 v51, v0, v63, -v1
	v_add_f32_e32 v0, v29, v18
	v_mul_f32_e32 v5, v5, v54
	v_add_f32_e32 v1, v20, v13
	v_fmac_f32_e32 v23, v4, v54
	s_delay_alu instid0(VALU_DEP_3) | instskip(SKIP_2) | instid1(VALU_DEP_1)
	v_fma_f32 v47, v4, v55, -v5
	v_mul_f32_e32 v4, v7, v58
	v_dual_add_f32 v8, v30, v31 :: v_dual_mul_f32 v3, v3, v66
	v_fma_f32 v52, v2, v67, -v3
	v_sub_f32_e32 v2, v29, v18
	s_delay_alu instid0(VALU_DEP_3)
	v_dual_fmac_f32 v15, v10, v50 :: v_dual_sub_f32 v18, v0, v8
	v_fma_f32 v50, v6, v59, -v4
	v_dual_add_f32 v4, v21, v44 :: v_dual_fmac_f32 v45, v6, v58
	v_add_f32_e32 v5, v22, v12
	v_sub_f32_e32 v6, v21, v44
	v_dual_sub_f32 v7, v22, v12 :: v_dual_sub_f32 v10, v31, v30
	s_delay_alu instid0(VALU_DEP_4) | instskip(SKIP_2) | instid1(VALU_DEP_4)
	v_add_f32_e32 v12, v4, v0
	v_sub_f32_e32 v16, v4, v0
	v_sub_f32_e32 v4, v8, v4
	v_dual_sub_f32 v3, v20, v13 :: v_dual_add_f32 v0, v10, v6
	s_delay_alu instid0(VALU_DEP_4) | instskip(SKIP_2) | instid1(VALU_DEP_4)
	v_dual_add_f32 v8, v8, v12 :: v_dual_sub_f32 v21, v10, v6
	v_sub_f32_e32 v10, v2, v10
	v_sub_f32_e32 v6, v6, v2
	v_dual_add_f32 v2, v0, v2 :: v_dual_add_f32 v13, v5, v1
	s_delay_alu instid0(VALU_DEP_4) | instskip(SKIP_3) | instid1(VALU_DEP_4)
	v_dual_sub_f32 v17, v5, v1 :: v_dual_add_f32 v0, v112, v8
	v_mul_f32_e32 v12, 0x3f4a47b2, v18
	v_mul_f32_e32 v18, 0x3d64c772, v4
	v_sub_f32_e32 v20, v1, v9
	v_dual_sub_f32 v5, v9, v5 :: v_dual_fmamk_f32 v8, v8, 0xbf955555, v0
	s_delay_alu instid0(VALU_DEP_4) | instskip(NEXT) | instid1(VALU_DEP_3)
	v_dual_add_f32 v9, v9, v13 :: v_dual_fmamk_f32 v4, v4, 0x3d64c772, v12
	v_mul_f32_e32 v13, 0x3f4a47b2, v20
	s_delay_alu instid0(VALU_DEP_3)
	v_dual_mul_f32 v20, 0x3d64c772, v5 :: v_dual_add_f32 v1, v11, v7
	v_fma_f32 v12, 0xbf3bfb3b, v16, -v12
	v_sub_f32_e32 v22, v11, v7
	v_sub_f32_e32 v7, v7, v3
	v_mul_f32_e32 v29, 0xbf5ff5aa, v6
	v_fma_f32 v18, 0x3f3bfb3b, v16, -v18
	v_dual_add_f32 v12, v12, v8 :: v_dual_mul_f32 v21, 0x3f08b237, v21
	v_sub_f32_e32 v11, v3, v11
	v_mul_f32_e32 v30, 0xbf5ff5aa, v7
	v_mul_f32_e32 v22, 0x3f08b237, v22
	v_fma_f32 v29, 0x3eae86e6, v10, -v29
	v_dual_fmamk_f32 v16, v10, 0xbeae86e6, v21 :: v_dual_add_f32 v3, v1, v3
	s_delay_alu instid0(VALU_DEP_4) | instskip(SKIP_2) | instid1(VALU_DEP_4)
	v_fma_f32 v10, 0x3eae86e6, v11, -v30
	v_fma_f32 v20, 0x3f3bfb3b, v17, -v20
	v_add_f32_e32 v30, v4, v8
	v_dual_fmac_f32 v16, 0xbee1c552, v2 :: v_dual_add_f32 v1, v113, v9
	s_delay_alu instid0(VALU_DEP_4)
	v_fmac_f32_e32 v10, 0xbee1c552, v3
	v_fmamk_f32 v5, v5, 0x3d64c772, v13
	v_fma_f32 v13, 0xbf3bfb3b, v17, -v13
	v_fmamk_f32 v17, v11, 0xbeae86e6, v22
	v_add_f32_e32 v11, v18, v8
	v_dual_fmamk_f32 v9, v9, 0xbf955555, v1 :: v_dual_add_f32 v4, v10, v12
	v_fma_f32 v21, 0xbf5ff5aa, v6, -v21
	s_delay_alu instid0(VALU_DEP_4) | instskip(NEXT) | instid1(VALU_DEP_3)
	v_fmac_f32_e32 v17, 0xbee1c552, v3
	v_dual_fmac_f32 v29, 0xbee1c552, v2 :: v_dual_add_f32 v18, v20, v9
	v_fma_f32 v22, 0xbf5ff5aa, v7, -v22
	s_delay_alu instid0(VALU_DEP_4) | instskip(SKIP_3) | instid1(VALU_DEP_4)
	v_fmac_f32_e32 v21, 0xbee1c552, v2
	v_sub_f32_e32 v10, v12, v10
	v_sub_f32_e32 v12, v30, v17
	v_add_f32_e32 v2, v17, v30
	v_dual_fmac_f32 v22, 0xbee1c552, v3 :: v_dual_add_f32 v7, v21, v18
	v_add_f32_e32 v20, v46, v51
	v_sub_f32_e32 v30, v50, v47
	s_delay_alu instid0(VALU_DEP_3) | instskip(SKIP_3) | instid1(VALU_DEP_4)
	v_dual_sub_f32 v6, v11, v22 :: v_dual_add_f32 v31, v5, v9
	v_dual_add_f32 v13, v13, v9 :: v_dual_add_f32 v8, v22, v11
	v_sub_f32_e32 v9, v18, v21
	v_dual_sub_f32 v18, v19, v49 :: v_dual_add_f32 v17, v14, v52
	v_sub_f32_e32 v3, v31, v16
	s_delay_alu instid0(VALU_DEP_4)
	v_dual_sub_f32 v14, v14, v52 :: v_dual_add_f32 v11, v29, v13
	v_dual_sub_f32 v21, v46, v51 :: v_dual_add_f32 v22, v23, v45
	v_sub_f32_e32 v5, v13, v29
	v_dual_add_f32 v13, v16, v31 :: v_dual_add_f32 v16, v19, v49
	v_add_f32_e32 v19, v15, v48
	v_sub_f32_e32 v15, v15, v48
	v_sub_f32_e32 v23, v45, v23
	v_dual_add_f32 v29, v47, v50 :: v_dual_sub_f32 v50, v30, v21
	s_delay_alu instid0(VALU_DEP_3) | instskip(NEXT) | instid1(VALU_DEP_3)
	v_sub_f32_e32 v51, v15, v18
	v_add_f32_e32 v47, v23, v15
	v_sub_f32_e32 v49, v23, v15
	s_delay_alu instid0(VALU_DEP_2) | instskip(SKIP_3) | instid1(VALU_DEP_2)
	v_dual_sub_f32 v23, v18, v23 :: v_dual_add_f32 v18, v47, v18
	v_dual_sub_f32 v46, v20, v17 :: v_dual_add_f32 v31, v19, v16
	v_dual_sub_f32 v45, v19, v16 :: v_dual_sub_f32 v16, v16, v22
	v_add_f32_e32 v44, v20, v17
	v_mul_f32_e32 v16, 0x3f4a47b2, v16
	v_dual_add_f32 v48, v30, v21 :: v_dual_sub_f32 v21, v21, v14
	v_sub_f32_e32 v19, v22, v19
	v_dual_add_f32 v22, v22, v31 :: v_dual_sub_f32 v17, v17, v29
	v_sub_f32_e32 v20, v29, v20
	v_sub_f32_e32 v30, v14, v30
	v_dual_add_f32 v31, v48, v14 :: v_dual_mul_f32 v48, 0x3f08b237, v49
	v_mul_f32_e32 v49, 0x3f08b237, v50
	s_delay_alu instid0(VALU_DEP_4) | instskip(SKIP_3) | instid1(VALU_DEP_4)
	v_mul_f32_e32 v47, 0x3d64c772, v20
	v_mul_f32_e32 v50, 0xbf5ff5aa, v51
	v_dual_mul_f32 v17, 0x3f4a47b2, v17 :: v_dual_add_f32 v14, v114, v22
	v_mul_f32_e32 v52, 0xbf5ff5aa, v21
	v_fma_f32 v47, 0x3f3bfb3b, v46, -v47
	s_delay_alu instid0(VALU_DEP_3)
	v_fmamk_f32 v20, v20, 0x3d64c772, v17
	v_fma_f32 v17, 0xbf3bfb3b, v46, -v17
	v_dual_fmamk_f32 v46, v30, 0xbeae86e6, v49 :: v_dual_add_f32 v29, v29, v44
	v_mul_f32_e32 v44, 0x3d64c772, v19
	v_fmamk_f32 v22, v22, 0xbf955555, v14
	v_fmamk_f32 v19, v19, 0x3d64c772, v16
	s_delay_alu instid0(VALU_DEP_4) | instskip(NEXT) | instid1(VALU_DEP_4)
	v_dual_fmac_f32 v46, 0xbee1c552, v31 :: v_dual_add_f32 v15, v115, v29
	v_fma_f32 v44, 0x3f3bfb3b, v45, -v44
	v_fma_f32 v16, 0xbf3bfb3b, v45, -v16
	;; [unrolled: 1-line block ×3, first 2 shown]
	s_delay_alu instid0(VALU_DEP_4) | instskip(NEXT) | instid1(VALU_DEP_1)
	v_fmamk_f32 v29, v29, 0xbf955555, v15
	v_dual_add_f32 v52, v20, v29 :: v_dual_fmamk_f32 v45, v23, 0xbeae86e6, v48
	v_fma_f32 v48, 0xbf5ff5aa, v51, -v48
	v_fma_f32 v50, 0x3eae86e6, v23, -v50
	v_add_f32_e32 v51, v19, v22
	v_dual_add_f32 v23, v44, v22 :: v_dual_add_f32 v44, v47, v29
	v_add_f32_e32 v47, v16, v22
	s_delay_alu instid0(VALU_DEP_4) | instskip(NEXT) | instid1(VALU_DEP_4)
	v_dual_add_f32 v53, v17, v29 :: v_dual_fmac_f32 v50, 0xbee1c552, v18
	v_add_f32_e32 v16, v46, v51
	v_dual_fmac_f32 v30, 0xbee1c552, v31 :: v_dual_fmac_f32 v45, 0xbee1c552, v18
	v_fmac_f32_e32 v48, 0xbee1c552, v18
	s_delay_alu instid0(VALU_DEP_2)
	v_dual_sub_f32 v19, v53, v50 :: v_dual_add_f32 v18, v30, v47
	v_dual_sub_f32 v29, v47, v30 :: v_dual_add_f32 v30, v50, v53
	v_fma_f32 v49, 0xbf5ff5aa, v21, -v49
	v_sub_f32_e32 v17, v52, v45
	v_add_f32_e32 v21, v48, v44
	v_add_f32_e32 v45, v45, v52
	s_delay_alu instid0(VALU_DEP_4) | instskip(NEXT) | instid1(VALU_DEP_1)
	v_fmac_f32_e32 v49, 0xbee1c552, v31
	v_sub_f32_e32 v20, v23, v49
	v_dual_add_f32 v22, v49, v23 :: v_dual_sub_f32 v23, v44, v48
	v_sub_f32_e32 v44, v51, v46
	ds_store_2addr_b64 v111, v[0:1], v[2:3] offset1:9
	ds_store_2addr_b64 v111, v[4:5], v[6:7] offset0:18 offset1:27
	ds_store_2addr_b64 v111, v[8:9], v[10:11] offset0:36 offset1:45
	ds_store_b64 v111, v[12:13] offset:432
	ds_store_2addr_b64 v110, v[14:15], v[16:17] offset1:9
	ds_store_2addr_b64 v110, v[18:19], v[20:21] offset0:18 offset1:27
	ds_store_2addr_b64 v110, v[22:23], v[29:30] offset0:36 offset1:45
	ds_store_b64 v110, v[44:45] offset:432
	global_wb scope:SCOPE_SE
	s_wait_dscnt 0x0
	s_barrier_signal -1
	s_barrier_wait -1
	global_inv scope:SCOPE_SE
	ds_load_2addr_b64 v[0:3], v107 offset0:126 offset1:189
	ds_load_2addr_b64 v[4:7], v27 offset0:124 offset1:187
	;; [unrolled: 1-line block ×6, first 2 shown]
	ds_load_2addr_b64 v[44:47], v107 offset1:63
	global_wb scope:SCOPE_SE
	s_wait_dscnt 0x0
	s_barrier_signal -1
	s_barrier_wait -1
	global_inv scope:SCOPE_SE
	v_mul_f32_e32 v29, v41, v1
	v_dual_mul_f32 v30, v41, v0 :: v_dual_mul_f32 v31, v43, v5
	v_dual_mul_f32 v48, v43, v4 :: v_dual_mul_f32 v49, v33, v17
	s_delay_alu instid0(VALU_DEP_3) | instskip(NEXT) | instid1(VALU_DEP_3)
	v_fmac_f32_e32 v29, v40, v0
	v_fma_f32 v0, v40, v1, -v30
	s_delay_alu instid0(VALU_DEP_4) | instskip(NEXT) | instid1(VALU_DEP_4)
	v_fmac_f32_e32 v31, v42, v4
	v_fma_f32 v1, v42, v5, -v48
	v_mul_f32_e32 v4, v37, v9
	v_mul_f32_e32 v48, v39, v12
	v_dual_mul_f32 v5, v37, v8 :: v_dual_mul_f32 v30, v39, v13
	v_fmac_f32_e32 v49, v32, v16
	s_delay_alu instid0(VALU_DEP_4) | instskip(NEXT) | instid1(VALU_DEP_4)
	v_fmac_f32_e32 v4, v36, v8
	v_fma_f32 v8, v38, v13, -v48
	v_mul_f32_e32 v13, v35, v20
	v_fma_f32 v5, v36, v9, -v5
	v_fmac_f32_e32 v30, v38, v12
	v_mul_f32_e32 v12, v35, v21
	s_delay_alu instid0(VALU_DEP_4) | instskip(SKIP_2) | instid1(VALU_DEP_4)
	v_fma_f32 v13, v34, v21, -v13
	v_mul_f32_e32 v9, v33, v16
	v_mul_f32_e32 v16, v41, v3
	v_dual_mul_f32 v41, v41, v2 :: v_dual_fmac_f32 v12, v34, v20
	v_mul_f32_e32 v20, v43, v7
	s_delay_alu instid0(VALU_DEP_4) | instskip(NEXT) | instid1(VALU_DEP_4)
	v_fma_f32 v9, v32, v17, -v9
	v_fmac_f32_e32 v16, v40, v2
	v_mul_f32_e32 v2, v43, v6
	v_fma_f32 v17, v40, v3, -v41
	v_mul_f32_e32 v21, v37, v11
	v_mul_f32_e32 v3, v37, v10
	;; [unrolled: 1-line block ×3, first 2 shown]
	v_fma_f32 v40, v42, v7, -v2
	v_mul_f32_e32 v2, v39, v14
	v_fmac_f32_e32 v20, v42, v6
	v_fmac_f32_e32 v21, v36, v10
	v_fma_f32 v36, v36, v11, -v3
	v_mul_f32_e32 v6, v35, v22
	v_fma_f32 v15, v38, v15, -v2
	v_dual_add_f32 v2, v29, v12 :: v_dual_fmac_f32 v37, v38, v14
	v_mul_f32_e32 v14, v33, v19
	v_add_f32_e32 v10, v1, v9
	v_sub_f32_e32 v1, v1, v9
	v_dual_add_f32 v9, v4, v30 :: v_dual_sub_f32 v4, v30, v4
	v_mul_f32_e32 v3, v33, v18
	v_fmac_f32_e32 v14, v32, v18
	s_delay_alu instid0(VALU_DEP_2) | instskip(SKIP_3) | instid1(VALU_DEP_1)
	v_fma_f32 v18, v32, v19, -v3
	v_fma_f32 v19, v34, v23, -v6
	v_sub_f32_e32 v6, v29, v12
	v_dual_add_f32 v12, v5, v8 :: v_dual_sub_f32 v5, v8, v5
	v_dual_mul_f32 v33, v35, v23 :: v_dual_sub_f32 v32, v5, v1
	s_delay_alu instid0(VALU_DEP_1) | instskip(NEXT) | instid1(VALU_DEP_1)
	v_dual_add_f32 v7, v31, v49 :: v_dual_mul_f32 v32, 0x3f08b237, v32
	v_add_f32_e32 v8, v7, v2
	s_delay_alu instid0(VALU_DEP_1) | instskip(SKIP_2) | instid1(VALU_DEP_3)
	v_dual_add_f32 v8, v9, v8 :: v_dual_add_f32 v3, v0, v13
	v_sub_f32_e32 v0, v0, v13
	v_sub_f32_e32 v11, v31, v49
	v_add_f32_e32 v13, v10, v3
	v_dual_sub_f32 v23, v10, v3 :: v_dual_sub_f32 v10, v12, v10
	v_fmac_f32_e32 v33, v34, v22
	v_sub_f32_e32 v22, v7, v2
	v_dual_sub_f32 v2, v2, v9 :: v_dual_sub_f32 v3, v3, v12
	s_delay_alu instid0(VALU_DEP_1) | instskip(SKIP_4) | instid1(VALU_DEP_3)
	v_dual_sub_f32 v7, v9, v7 :: v_dual_mul_f32 v2, 0x3f4a47b2, v2
	v_dual_add_f32 v9, v12, v13 :: v_dual_sub_f32 v12, v1, v0
	v_add_f32_e32 v29, v4, v11
	v_dual_sub_f32 v31, v4, v11 :: v_dual_sub_f32 v4, v6, v4
	v_sub_f32_e32 v11, v11, v6
	v_dual_mul_f32 v35, 0xbf5ff5aa, v12 :: v_dual_add_f32 v6, v29, v6
	v_dual_add_f32 v30, v5, v1 :: v_dual_mul_f32 v29, 0x3d64c772, v7
	s_delay_alu instid0(VALU_DEP_4) | instskip(SKIP_2) | instid1(VALU_DEP_4)
	v_mul_f32_e32 v31, 0x3f08b237, v31
	v_fmamk_f32 v7, v7, 0x3d64c772, v2
	v_fma_f32 v2, 0xbf3bfb3b, v22, -v2
	v_add_f32_e32 v13, v30, v0
	v_fma_f32 v29, 0x3f3bfb3b, v22, -v29
	v_fmamk_f32 v22, v4, 0xbeae86e6, v31
	v_sub_f32_e32 v5, v0, v5
	v_dual_add_f32 v0, v44, v8 :: v_dual_add_f32 v1, v45, v9
	v_fma_f32 v12, 0xbf5ff5aa, v12, -v32
	s_delay_alu instid0(VALU_DEP_4) | instskip(SKIP_1) | instid1(VALU_DEP_4)
	v_fmac_f32_e32 v22, 0xbee1c552, v6
	v_mul_f32_e32 v30, 0x3d64c772, v10
	v_fmamk_f32 v8, v8, 0xbf955555, v0
	v_mul_f32_e32 v34, 0xbf5ff5aa, v11
	v_fma_f32 v11, 0xbf5ff5aa, v11, -v31
	v_fmac_f32_e32 v12, 0xbee1c552, v13
	v_fmamk_f32 v9, v9, 0xbf955555, v1
	v_fma_f32 v30, 0x3f3bfb3b, v23, -v30
	v_fma_f32 v31, 0x3eae86e6, v4, -v34
	v_dual_add_f32 v34, v7, v8 :: v_dual_mul_f32 v3, 0x3f4a47b2, v3
	s_delay_alu instid0(VALU_DEP_2) | instskip(NEXT) | instid1(VALU_DEP_2)
	v_fmac_f32_e32 v31, 0xbee1c552, v6
	v_fmamk_f32 v10, v10, 0x3d64c772, v3
	v_fma_f32 v3, 0xbf3bfb3b, v23, -v3
	v_fmamk_f32 v23, v5, 0xbeae86e6, v32
	v_fma_f32 v32, 0x3eae86e6, v5, -v35
	v_fmac_f32_e32 v11, 0xbee1c552, v6
	v_dual_add_f32 v35, v10, v9 :: v_dual_add_f32 v10, v29, v8
	s_delay_alu instid0(VALU_DEP_4) | instskip(NEXT) | instid1(VALU_DEP_4)
	v_fmac_f32_e32 v23, 0xbee1c552, v13
	v_fmac_f32_e32 v32, 0xbee1c552, v13
	s_delay_alu instid0(VALU_DEP_3) | instskip(SKIP_4) | instid1(VALU_DEP_2)
	v_sub_f32_e32 v6, v10, v12
	v_add_f32_e32 v29, v30, v9
	v_add_f32_e32 v30, v2, v8
	;; [unrolled: 1-line block ×4, first 2 shown]
	v_dual_add_f32 v4, v32, v30 :: v_dual_sub_f32 v5, v38, v31
	v_sub_f32_e32 v10, v30, v32
	v_add_f32_e32 v30, v36, v15
	v_add_f32_e32 v2, v23, v34
	v_dual_add_f32 v7, v11, v29 :: v_dual_sub_f32 v12, v34, v23
	v_sub_f32_e32 v15, v15, v36
	v_add_f32_e32 v23, v17, v19
	v_sub_f32_e32 v17, v17, v19
	v_add_f32_e32 v19, v20, v14
	v_sub_f32_e32 v14, v20, v14
	v_sub_f32_e32 v3, v35, v22
	v_dual_add_f32 v13, v22, v35 :: v_dual_add_f32 v22, v16, v33
	v_add_f32_e32 v20, v21, v37
	v_sub_f32_e32 v9, v29, v11
	v_add_f32_e32 v29, v40, v18
	v_sub_f32_e32 v18, v40, v18
	v_dual_add_f32 v11, v31, v38 :: v_dual_sub_f32 v16, v16, v33
	s_delay_alu instid0(VALU_DEP_2) | instskip(NEXT) | instid1(VALU_DEP_4)
	v_sub_f32_e32 v38, v15, v18
	v_add_f32_e32 v32, v29, v23
	v_dual_sub_f32 v34, v29, v23 :: v_dual_add_f32 v31, v19, v22
	v_sub_f32_e32 v21, v37, v21
	v_sub_f32_e32 v29, v30, v29
	v_dual_sub_f32 v33, v19, v22 :: v_dual_sub_f32 v22, v22, v20
	v_dual_sub_f32 v19, v20, v19 :: v_dual_add_f32 v36, v15, v18
	s_delay_alu instid0(VALU_DEP_4) | instskip(SKIP_2) | instid1(VALU_DEP_4)
	v_dual_add_f32 v20, v20, v31 :: v_dual_add_f32 v35, v21, v14
	v_sub_f32_e32 v40, v14, v16
	v_dual_sub_f32 v18, v18, v17 :: v_dual_sub_f32 v39, v17, v15
	v_dual_add_f32 v17, v36, v17 :: v_dual_mul_f32 v36, 0x3f08b237, v38
	s_delay_alu instid0(VALU_DEP_4) | instskip(SKIP_3) | instid1(VALU_DEP_3)
	v_dual_sub_f32 v37, v21, v14 :: v_dual_add_f32 v14, v46, v20
	v_dual_sub_f32 v23, v23, v30 :: v_dual_add_f32 v30, v30, v32
	v_dual_mul_f32 v22, 0x3f4a47b2, v22 :: v_dual_sub_f32 v21, v16, v21
	v_mul_f32_e32 v38, 0xbf5ff5aa, v18
	v_dual_fmamk_f32 v20, v20, 0xbf955555, v14 :: v_dual_add_f32 v15, v47, v30
	s_delay_alu instid0(VALU_DEP_4) | instskip(SKIP_1) | instid1(VALU_DEP_4)
	v_mul_f32_e32 v23, 0x3f4a47b2, v23
	v_mul_f32_e32 v32, 0x3d64c772, v29
	v_fma_f32 v38, 0x3eae86e6, v39, -v38
	s_delay_alu instid0(VALU_DEP_4) | instskip(NEXT) | instid1(VALU_DEP_4)
	v_fmamk_f32 v30, v30, 0xbf955555, v15
	v_dual_add_f32 v16, v35, v16 :: v_dual_fmamk_f32 v29, v29, 0x3d64c772, v23
	v_fma_f32 v23, 0xbf3bfb3b, v34, -v23
	v_mul_f32_e32 v31, 0x3d64c772, v19
	v_fmamk_f32 v19, v19, 0x3d64c772, v22
	v_fma_f32 v32, 0x3f3bfb3b, v34, -v32
	v_fmamk_f32 v34, v39, 0xbeae86e6, v36
	v_fma_f32 v36, 0xbf5ff5aa, v18, -v36
	v_fma_f32 v31, 0x3f3bfb3b, v33, -v31
	v_add_f32_e32 v39, v19, v20
	v_mul_f32_e32 v35, 0x3f08b237, v37
	v_mul_f32_e32 v37, 0xbf5ff5aa, v40
	v_fma_f32 v22, 0xbf3bfb3b, v33, -v22
	s_delay_alu instid0(VALU_DEP_3)
	v_fmamk_f32 v33, v21, 0xbeae86e6, v35
	v_fma_f32 v35, 0xbf5ff5aa, v40, -v35
	v_dual_add_f32 v40, v29, v30 :: v_dual_add_f32 v29, v31, v20
	v_dual_fmac_f32 v38, 0xbee1c552, v17 :: v_dual_add_f32 v31, v32, v30
	v_fmac_f32_e32 v36, 0xbee1c552, v17
	v_add_f32_e32 v32, v22, v20
	v_add_f32_e32 v30, v23, v30
	v_dual_fmac_f32 v34, 0xbee1c552, v17 :: v_dual_fmac_f32 v35, 0xbee1c552, v16
	s_delay_alu instid0(VALU_DEP_4) | instskip(SKIP_2) | instid1(VALU_DEP_4)
	v_add_f32_e32 v22, v36, v29
	v_fma_f32 v37, 0x3eae86e6, v21, -v37
	v_add_f32_e32 v18, v38, v32
	v_dual_sub_f32 v20, v29, v36 :: v_dual_add_f32 v21, v35, v31
	v_sub_f32_e32 v23, v31, v35
	s_delay_alu instid0(VALU_DEP_4) | instskip(SKIP_3) | instid1(VALU_DEP_4)
	v_fmac_f32_e32 v37, 0xbee1c552, v16
	v_dual_fmac_f32 v33, 0xbee1c552, v16 :: v_dual_add_f32 v16, v34, v39
	v_sub_f32_e32 v29, v32, v38
	v_sub_f32_e32 v31, v39, v34
	v_dual_sub_f32 v19, v30, v37 :: v_dual_add_f32 v30, v37, v30
	s_delay_alu instid0(VALU_DEP_4)
	v_dual_sub_f32 v17, v40, v33 :: v_dual_add_f32 v32, v33, v40
	ds_store_2addr_b64 v107, v[0:1], v[2:3] offset1:63
	ds_store_2addr_b64 v107, v[4:5], v[6:7] offset0:126 offset1:189
	ds_store_2addr_b64 v27, v[8:9], v[10:11] offset0:124 offset1:187
	ds_store_2addr_b64 v26, v[12:13], v[14:15] offset0:122 offset1:185
	ds_store_2addr_b64 v25, v[16:17], v[18:19] offset0:120 offset1:183
	ds_store_2addr_b64 v24, v[20:21], v[22:23] offset0:118 offset1:181
	ds_store_2addr_b64 v28, v[29:30], v[31:32] offset0:116 offset1:179
	global_wb scope:SCOPE_SE
	s_wait_dscnt 0x0
	s_barrier_signal -1
	s_barrier_wait -1
	global_inv scope:SCOPE_SE
	ds_load_2addr_b64 v[0:3], v26 offset0:122 offset1:185
	ds_load_2addr_b64 v[4:7], v25 offset0:120 offset1:183
	;; [unrolled: 1-line block ×3, first 2 shown]
	ds_load_2addr_b64 v[12:15], v107 offset1:63
	ds_load_2addr_b64 v[16:19], v28 offset0:116 offset1:179
	ds_load_2addr_b64 v[20:23], v107 offset0:126 offset1:189
	;; [unrolled: 1-line block ×3, first 2 shown]
	s_wait_dscnt 0x6
	v_mul_f32_e32 v33, v104, v3
	v_mul_f32_e32 v34, v104, v2
	s_wait_dscnt 0x4
	v_dual_mul_f32 v38, v94, v11 :: v_dual_mul_f32 v35, v96, v5
	s_delay_alu instid0(VALU_DEP_3)
	v_dual_mul_f32 v36, v102, v9 :: v_dual_fmac_f32 v33, v103, v2
	s_wait_dscnt 0x2
	v_mul_f32_e32 v40, v100, v17
	v_mul_f32_e32 v2, v96, v4
	v_fma_f32 v3, v103, v3, -v34
	v_mul_f32_e32 v34, v98, v7
	v_dual_fmac_f32 v38, v93, v10 :: v_dual_fmac_f32 v35, v95, v4
	s_delay_alu instid0(VALU_DEP_4)
	v_fma_f32 v5, v95, v5, -v2
	v_mul_f32_e32 v2, v102, v8
	v_mul_f32_e32 v4, v98, v6
	v_fmac_f32_e32 v34, v97, v6
	v_mul_f32_e32 v6, v92, v18
	v_fmac_f32_e32 v36, v101, v8
	v_fma_f32 v39, v101, v9, -v2
	v_mul_f32_e32 v2, v94, v10
	v_fma_f32 v37, v97, v7, -v4
	v_dual_mul_f32 v41, v92, v19 :: v_dual_fmac_f32 v40, v99, v16
	v_mul_f32_e32 v4, v100, v16
	s_delay_alu instid0(VALU_DEP_4) | instskip(SKIP_1) | instid1(VALU_DEP_4)
	v_fma_f32 v42, v93, v11, -v2
	v_dual_sub_f32 v2, v12, v33 :: v_dual_sub_f32 v3, v13, v3
	v_fmac_f32_e32 v41, v91, v18
	s_delay_alu instid0(VALU_DEP_4)
	v_fma_f32 v43, v99, v17, -v4
	v_dual_sub_f32 v4, v14, v35 :: v_dual_sub_f32 v5, v15, v5
	v_fma_f32 v35, v91, v19, -v6
	v_fma_f32 v6, v12, 2.0, -v2
	v_fma_f32 v7, v13, 2.0, -v3
	s_wait_dscnt 0x1
	v_dual_sub_f32 v12, v22, v36 :: v_dual_sub_f32 v13, v23, v39
	v_dual_sub_f32 v10, v20, v34 :: v_dual_sub_f32 v11, v21, v37
	s_wait_dscnt 0x0
	v_sub_f32_e32 v16, v29, v38
	s_delay_alu instid0(VALU_DEP_3)
	v_fma_f32 v18, v22, 2.0, -v12
	v_fma_f32 v19, v23, 2.0, -v13
	v_sub_f32_e32 v23, v32, v43
	v_dual_sub_f32 v17, v30, v42 :: v_dual_sub_f32 v22, v31, v40
	v_dual_sub_f32 v33, v0, v41 :: v_dual_sub_f32 v34, v1, v35
	v_fma_f32 v8, v14, 2.0, -v4
	v_fma_f32 v9, v15, 2.0, -v5
	;; [unrolled: 1-line block ×10, first 2 shown]
	ds_store_2addr_b64 v107, v[6:7], v[8:9] offset1:63
	ds_store_2addr_b64 v25, v[4:5], v[10:11] offset0:120 offset1:183
	ds_store_2addr_b64 v107, v[14:15], v[18:19] offset0:126 offset1:189
	;; [unrolled: 1-line block ×6, first 2 shown]
	global_wb scope:SCOPE_SE
	s_wait_dscnt 0x0
	s_barrier_signal -1
	s_barrier_wait -1
	global_inv scope:SCOPE_SE
	ds_load_2addr_b64 v[0:3], v107 offset1:98
	ds_load_2addr_b64 v[4:7], v27 offset0:68 offset1:166
	v_mad_co_u64_u32 v[39:40], null, s6, v70, 0
	v_mad_co_u64_u32 v[41:42], null, s4, v108, 0
	s_delay_alu instid0(VALU_DEP_1) | instskip(SKIP_4) | instid1(VALU_DEP_3)
	v_mad_co_u64_u32 v[43:44], null, s7, v70, v[40:41]
	s_wait_dscnt 0x0
	v_dual_mul_f32 v8, v88, v1 :: v_dual_mul_f32 v23, v82, v6
	v_dual_mul_f32 v9, v88, v0 :: v_dual_mul_f32 v12, v74, v3
	v_mul_f32_e32 v21, v80, v4
	v_fmac_f32_e32 v8, v87, v0
	s_delay_alu instid0(VALU_DEP_4) | instskip(NEXT) | instid1(VALU_DEP_4)
	v_fma_f32 v27, v81, v7, -v23
	v_fma_f32 v13, v87, v1, -v9
	v_fmac_f32_e32 v12, v73, v2
	v_fma_f32 v21, v79, v5, -v21
	v_cvt_f64_f32_e32 v[0:1], v8
	ds_load_2addr_b64 v[8:11], v26 offset0:136 offset1:234
	v_cvt_f64_f32_e32 v[16:17], v13
	v_cvt_f64_f32_e32 v[18:19], v12
	ds_load_2addr_b64 v[12:15], v24 offset0:76 offset1:174
	v_mul_f32_e32 v20, v80, v5
	v_mul_f32_e32 v2, v74, v2
	v_cvt_f64_f32_e32 v[27:28], v27
	v_mov_b32_e32 v40, v43
	v_mad_co_u64_u32 v[42:43], null, s5, v108, v[42:43]
	s_delay_alu instid0(VALU_DEP_2) | instskip(NEXT) | instid1(VALU_DEP_2)
	v_lshlrev_b64_e32 v[39:40], 3, v[39:40]
	v_lshlrev_b64_e32 v[41:42], 3, v[41:42]
	s_delay_alu instid0(VALU_DEP_2)
	v_add_co_u32 v39, s0, s10, v39
	s_wait_dscnt 0x1
	v_dual_mul_f32 v29, v72, v9 :: v_dual_mul_f32 v22, v82, v7
	v_dual_mul_f32 v31, v78, v11 :: v_dual_fmac_f32 v20, v79, v4
	s_wait_dscnt 0x0
	v_mul_f32_e32 v33, v76, v13
	s_delay_alu instid0(VALU_DEP_3) | instskip(SKIP_2) | instid1(VALU_DEP_4)
	v_dual_fmac_f32 v29, v71, v8 :: v_dual_fmac_f32 v22, v81, v6
	v_cvt_f64_f32_e32 v[6:7], v21
	v_fmac_f32_e32 v31, v77, v10
	v_fmac_f32_e32 v33, v75, v12
	v_cvt_f64_f32_e32 v[4:5], v20
	v_cvt_f64_f32_e32 v[20:21], v22
	ds_load_b64 v[22:23], v107 offset:6272
	v_fma_f32 v2, v73, v3, -v2
	v_mul_f32_e32 v30, v72, v8
	v_dual_mul_f32 v32, v78, v10 :: v_dual_mul_f32 v35, v84, v15
	v_mul_f32_e32 v12, v76, v12
	s_delay_alu instid0(VALU_DEP_4) | instskip(SKIP_1) | instid1(VALU_DEP_4)
	v_cvt_f64_f32_e32 v[2:3], v2
	v_mul_f32_e32 v36, v84, v14
	v_fma_f32 v32, v77, v11, -v32
	v_fmac_f32_e32 v35, v83, v14
	v_fma_f32 v12, v75, v13, -v12
	v_cvt_f64_f32_e32 v[33:34], v33
	v_fma_f32 v36, v83, v15, -v36
	s_wait_alu 0xfffe
	v_mul_f64_e32 v[0:1], s[2:3], v[0:1]
	v_cvt_f64_f32_e32 v[14:15], v35
	v_cvt_f64_f32_e32 v[12:13], v12
	v_mul_f64_e32 v[16:17], s[2:3], v[16:17]
	v_mul_f64_e32 v[18:19], s[2:3], v[18:19]
	;; [unrolled: 1-line block ×3, first 2 shown]
	s_wait_alu 0xf1ff
	v_add_co_ci_u32_e64 v40, s0, s11, v40, s0
	s_wait_dscnt 0x0
	v_mul_f32_e32 v37, v86, v23
	v_mul_f32_e32 v38, v86, v22
	v_fma_f32 v30, v71, v9, -v30
	v_cvt_f64_f32_e32 v[8:9], v29
	s_delay_alu instid0(VALU_DEP_4) | instskip(NEXT) | instid1(VALU_DEP_4)
	v_fmac_f32_e32 v37, v85, v22
	v_fma_f32 v38, v85, v23, -v38
	s_delay_alu instid0(VALU_DEP_4)
	v_cvt_f64_f32_e32 v[10:11], v30
	v_cvt_f64_f32_e32 v[29:30], v31
	;; [unrolled: 1-line block ×6, first 2 shown]
	v_mul_f64_e32 v[6:7], s[2:3], v[6:7]
	v_mul_f64_e32 v[4:5], s[2:3], v[4:5]
	;; [unrolled: 1-line block ×5, first 2 shown]
	v_cvt_f32_f64_e32 v0, v[0:1]
	v_mul_f64_e32 v[14:15], s[2:3], v[14:15]
	v_mul_f64_e32 v[12:13], s[2:3], v[12:13]
	v_cvt_f32_f64_e32 v1, v[16:17]
	v_cvt_f32_f64_e32 v18, v[18:19]
	v_add_co_u32 v16, s0, v39, v41
	s_wait_alu 0xf1ff
	v_add_co_ci_u32_e64 v17, s0, v40, v42, s0
	s_mul_u64 s[0:1], s[4:5], 0x62
	v_mul_f64_e32 v[8:9], s[2:3], v[8:9]
	s_wait_alu 0xfffe
	s_lshl_b64 s[6:7], s[0:1], 3
	v_mul_f64_e32 v[10:11], s[2:3], v[10:11]
	v_mul_f64_e32 v[29:30], s[2:3], v[29:30]
	;; [unrolled: 1-line block ×6, first 2 shown]
	v_cvt_f32_f64_e32 v19, v[2:3]
	v_cvt_f32_f64_e32 v2, v[4:5]
	;; [unrolled: 1-line block ×3, first 2 shown]
	s_wait_alu 0xfffe
	v_add_co_u32 v4, s0, v16, s6
	s_wait_alu 0xf1ff
	v_add_co_ci_u32_e64 v5, s0, s7, v17, s0
	v_cvt_f32_f64_e32 v6, v[20:21]
	v_cvt_f32_f64_e32 v7, v[27:28]
	;; [unrolled: 1-line block ×5, first 2 shown]
	global_store_b64 v[16:17], v[0:1], off
	v_cvt_f32_f64_e32 v8, v[8:9]
	v_cvt_f32_f64_e32 v9, v[10:11]
	;; [unrolled: 1-line block ×5, first 2 shown]
	v_add_co_u32 v22, s0, v4, s6
	s_wait_alu 0xf1ff
	v_add_co_ci_u32_e64 v23, s0, s7, v5, s0
	v_cvt_f32_f64_e32 v14, v[35:36]
	v_cvt_f32_f64_e32 v15, v[37:38]
	v_add_co_u32 v27, s0, v22, s6
	s_wait_alu 0xf1ff
	v_add_co_ci_u32_e64 v28, s0, s7, v23, s0
	s_delay_alu instid0(VALU_DEP_2) | instskip(SKIP_1) | instid1(VALU_DEP_2)
	v_add_co_u32 v29, s0, v27, s6
	s_wait_alu 0xf1ff
	v_add_co_ci_u32_e64 v30, s0, s7, v28, s0
	global_store_b64 v[4:5], v[18:19], off
	v_add_co_u32 v16, s0, v29, s6
	s_wait_alu 0xf1ff
	v_add_co_ci_u32_e64 v17, s0, s7, v30, s0
	global_store_b64 v[22:23], v[2:3], off
	;; [unrolled: 4-line block ×3, first 2 shown]
	v_add_co_u32 v2, s0, v4, s6
	s_wait_alu 0xf1ff
	v_add_co_ci_u32_e64 v3, s0, s7, v5, s0
	s_delay_alu instid0(VALU_DEP_2) | instskip(SKIP_1) | instid1(VALU_DEP_2)
	v_add_co_u32 v0, s0, v2, s6
	s_wait_alu 0xf1ff
	v_add_co_ci_u32_e64 v1, s0, s7, v3, s0
	global_store_b64 v[29:30], v[8:9], off
	global_store_b64 v[16:17], v[10:11], off
	;; [unrolled: 1-line block ×5, first 2 shown]
	s_and_b32 exec_lo, exec_lo, vcc_lo
	s_cbranch_execz .LBB0_15
; %bb.14:
	s_clause 0x2
	global_load_b64 v[10:11], v[68:69], off offset:504
	global_load_b64 v[12:13], v[68:69], off offset:1288
	;; [unrolled: 1-line block ×3, first 2 shown]
	ds_load_2addr_b64 v[2:5], v107 offset0:63 offset1:161
	ds_load_2addr_b64 v[6:9], v26 offset0:3 offset1:101
	v_mad_co_u64_u32 v[0:1], null, 0xffffe978, s4, v[0:1]
	s_mul_i32 s0, s5, 0xffffe978
	s_wait_alu 0xfffe
	s_sub_co_i32 s0, s0, s4
	s_wait_loadcnt_dscnt 0x201
	s_wait_alu 0xfffe
	s_delay_alu instid0(VALU_DEP_1)
	v_dual_mul_f32 v16, v3, v11 :: v_dual_add_nc_u32 v1, s0, v1
	s_wait_loadcnt 0x1
	v_mul_f32_e32 v17, v5, v13
	v_mul_f32_e32 v11, v2, v11
	s_wait_loadcnt_dscnt 0x0
	v_dual_mul_f32 v13, v4, v13 :: v_dual_mul_f32 v18, v7, v15
	v_mul_f32_e32 v15, v6, v15
	v_dual_fmac_f32 v16, v2, v10 :: v_dual_fmac_f32 v17, v4, v12
	v_fma_f32 v10, v10, v3, -v11
	s_delay_alu instid0(VALU_DEP_4)
	v_fma_f32 v11, v12, v5, -v13
	v_fmac_f32_e32 v18, v6, v14
	v_fma_f32 v14, v14, v7, -v15
	v_cvt_f64_f32_e32 v[2:3], v16
	v_cvt_f64_f32_e32 v[4:5], v10
	;; [unrolled: 1-line block ×6, first 2 shown]
	v_mul_f64_e32 v[2:3], s[2:3], v[2:3]
	v_mul_f64_e32 v[4:5], s[2:3], v[4:5]
	;; [unrolled: 1-line block ×6, first 2 shown]
	v_cvt_f32_f64_e32 v2, v[2:3]
	v_cvt_f32_f64_e32 v3, v[4:5]
	;; [unrolled: 1-line block ×6, first 2 shown]
	v_add_co_u32 v10, vcc_lo, v0, s6
	s_wait_alu 0xfffd
	v_add_co_ci_u32_e32 v11, vcc_lo, s7, v1, vcc_lo
	s_delay_alu instid0(VALU_DEP_2) | instskip(SKIP_1) | instid1(VALU_DEP_2)
	v_add_co_u32 v12, vcc_lo, v10, s6
	s_wait_alu 0xfffd
	v_add_co_ci_u32_e32 v13, vcc_lo, s7, v11, vcc_lo
	global_store_b64 v[0:1], v[2:3], off
	global_store_b64 v[10:11], v[4:5], off
	;; [unrolled: 1-line block ×3, first 2 shown]
	global_load_b64 v[0:1], v[68:69], off offset:2856
	v_add_co_u32 v4, vcc_lo, v12, s6
	s_wait_alu 0xfffd
	v_add_co_ci_u32_e32 v5, vcc_lo, s7, v13, vcc_lo
	s_wait_loadcnt 0x0
	v_mul_f32_e32 v2, v9, v1
	v_mul_f32_e32 v1, v8, v1
	s_delay_alu instid0(VALU_DEP_2) | instskip(NEXT) | instid1(VALU_DEP_2)
	v_fmac_f32_e32 v2, v8, v0
	v_fma_f32 v3, v0, v9, -v1
	s_delay_alu instid0(VALU_DEP_2) | instskip(NEXT) | instid1(VALU_DEP_2)
	v_cvt_f64_f32_e32 v[0:1], v2
	v_cvt_f64_f32_e32 v[2:3], v3
	s_delay_alu instid0(VALU_DEP_2) | instskip(NEXT) | instid1(VALU_DEP_2)
	v_mul_f64_e32 v[0:1], s[2:3], v[0:1]
	v_mul_f64_e32 v[2:3], s[2:3], v[2:3]
	s_delay_alu instid0(VALU_DEP_2) | instskip(NEXT) | instid1(VALU_DEP_2)
	v_cvt_f32_f64_e32 v0, v[0:1]
	v_cvt_f32_f64_e32 v1, v[2:3]
	global_store_b64 v[4:5], v[0:1], off
	global_load_b64 v[6:7], v[68:69], off offset:3640
	ds_load_2addr_b64 v[0:3], v25 offset0:71 offset1:169
	v_add_co_u32 v4, vcc_lo, v4, s6
	s_wait_alu 0xfffd
	v_add_co_ci_u32_e32 v5, vcc_lo, s7, v5, vcc_lo
	s_wait_loadcnt_dscnt 0x0
	v_mul_f32_e32 v8, v1, v7
	v_mul_f32_e32 v7, v0, v7
	s_delay_alu instid0(VALU_DEP_2) | instskip(NEXT) | instid1(VALU_DEP_2)
	v_fmac_f32_e32 v8, v0, v6
	v_fma_f32 v6, v6, v1, -v7
	s_delay_alu instid0(VALU_DEP_2) | instskip(NEXT) | instid1(VALU_DEP_2)
	v_cvt_f64_f32_e32 v[0:1], v8
	v_cvt_f64_f32_e32 v[6:7], v6
	s_delay_alu instid0(VALU_DEP_2) | instskip(NEXT) | instid1(VALU_DEP_2)
	v_mul_f64_e32 v[0:1], s[2:3], v[0:1]
	v_mul_f64_e32 v[6:7], s[2:3], v[6:7]
	s_delay_alu instid0(VALU_DEP_2) | instskip(NEXT) | instid1(VALU_DEP_2)
	v_cvt_f32_f64_e32 v0, v[0:1]
	v_cvt_f32_f64_e32 v1, v[6:7]
	global_store_b64 v[4:5], v[0:1], off
	global_load_b64 v[0:1], v[68:69], off offset:4424
	v_add_co_u32 v4, vcc_lo, v4, s6
	s_wait_alu 0xfffd
	v_add_co_ci_u32_e32 v5, vcc_lo, s7, v5, vcc_lo
	s_wait_loadcnt 0x0
	v_mul_f32_e32 v6, v3, v1
	v_mul_f32_e32 v1, v2, v1
	s_delay_alu instid0(VALU_DEP_2) | instskip(NEXT) | instid1(VALU_DEP_2)
	v_fmac_f32_e32 v6, v2, v0
	v_fma_f32 v2, v0, v3, -v1
	s_delay_alu instid0(VALU_DEP_2) | instskip(NEXT) | instid1(VALU_DEP_2)
	v_cvt_f64_f32_e32 v[0:1], v6
	v_cvt_f64_f32_e32 v[2:3], v2
	s_delay_alu instid0(VALU_DEP_2) | instskip(NEXT) | instid1(VALU_DEP_2)
	v_mul_f64_e32 v[0:1], s[2:3], v[0:1]
	v_mul_f64_e32 v[2:3], s[2:3], v[2:3]
	s_delay_alu instid0(VALU_DEP_2) | instskip(NEXT) | instid1(VALU_DEP_2)
	v_cvt_f32_f64_e32 v0, v[0:1]
	v_cvt_f32_f64_e32 v1, v[2:3]
	global_store_b64 v[4:5], v[0:1], off
	global_load_b64 v[6:7], v[68:69], off offset:5208
	ds_load_2addr_b64 v[0:3], v24 offset0:139 offset1:237
	v_add_co_u32 v4, vcc_lo, v4, s6
	s_wait_alu 0xfffd
	v_add_co_ci_u32_e32 v5, vcc_lo, s7, v5, vcc_lo
	s_wait_loadcnt_dscnt 0x0
	v_mul_f32_e32 v8, v1, v7
	v_mul_f32_e32 v7, v0, v7
	s_delay_alu instid0(VALU_DEP_2) | instskip(NEXT) | instid1(VALU_DEP_2)
	v_fmac_f32_e32 v8, v0, v6
	v_fma_f32 v6, v6, v1, -v7
	s_delay_alu instid0(VALU_DEP_2) | instskip(NEXT) | instid1(VALU_DEP_2)
	v_cvt_f64_f32_e32 v[0:1], v8
	v_cvt_f64_f32_e32 v[6:7], v6
	s_delay_alu instid0(VALU_DEP_2) | instskip(NEXT) | instid1(VALU_DEP_2)
	v_mul_f64_e32 v[0:1], s[2:3], v[0:1]
	v_mul_f64_e32 v[6:7], s[2:3], v[6:7]
	s_delay_alu instid0(VALU_DEP_2) | instskip(NEXT) | instid1(VALU_DEP_2)
	v_cvt_f32_f64_e32 v0, v[0:1]
	v_cvt_f32_f64_e32 v1, v[6:7]
	global_store_b64 v[4:5], v[0:1], off
	global_load_b64 v[0:1], v[68:69], off offset:5992
	s_wait_loadcnt 0x0
	v_mul_f32_e32 v6, v3, v1
	v_mul_f32_e32 v1, v2, v1
	s_delay_alu instid0(VALU_DEP_2) | instskip(NEXT) | instid1(VALU_DEP_2)
	v_fmac_f32_e32 v6, v2, v0
	v_fma_f32 v2, v0, v3, -v1
	s_delay_alu instid0(VALU_DEP_2) | instskip(NEXT) | instid1(VALU_DEP_2)
	v_cvt_f64_f32_e32 v[0:1], v6
	v_cvt_f64_f32_e32 v[2:3], v2
	s_delay_alu instid0(VALU_DEP_2) | instskip(NEXT) | instid1(VALU_DEP_2)
	v_mul_f64_e32 v[0:1], s[2:3], v[0:1]
	v_mul_f64_e32 v[2:3], s[2:3], v[2:3]
	s_delay_alu instid0(VALU_DEP_2) | instskip(NEXT) | instid1(VALU_DEP_2)
	v_cvt_f32_f64_e32 v0, v[0:1]
	v_cvt_f32_f64_e32 v1, v[2:3]
	v_add_co_u32 v2, vcc_lo, v4, s6
	s_wait_alu 0xfffd
	v_add_co_ci_u32_e32 v3, vcc_lo, s7, v5, vcc_lo
	ds_load_b64 v[4:5], v107 offset:6776
	global_store_b64 v[2:3], v[0:1], off
	global_load_b64 v[0:1], v[68:69], off offset:6776
	v_add_co_u32 v2, vcc_lo, v2, s6
	s_wait_alu 0xfffd
	v_add_co_ci_u32_e32 v3, vcc_lo, s7, v3, vcc_lo
	s_wait_loadcnt_dscnt 0x0
	v_mul_f32_e32 v6, v5, v1
	v_mul_f32_e32 v1, v4, v1
	s_delay_alu instid0(VALU_DEP_2) | instskip(NEXT) | instid1(VALU_DEP_2)
	v_fmac_f32_e32 v6, v4, v0
	v_fma_f32 v4, v0, v5, -v1
	s_delay_alu instid0(VALU_DEP_2) | instskip(NEXT) | instid1(VALU_DEP_2)
	v_cvt_f64_f32_e32 v[0:1], v6
	v_cvt_f64_f32_e32 v[4:5], v4
	s_delay_alu instid0(VALU_DEP_2) | instskip(NEXT) | instid1(VALU_DEP_2)
	v_mul_f64_e32 v[0:1], s[2:3], v[0:1]
	v_mul_f64_e32 v[4:5], s[2:3], v[4:5]
	s_delay_alu instid0(VALU_DEP_2) | instskip(NEXT) | instid1(VALU_DEP_2)
	v_cvt_f32_f64_e32 v0, v[0:1]
	v_cvt_f32_f64_e32 v1, v[4:5]
	global_store_b64 v[2:3], v[0:1], off
.LBB0_15:
	s_nop 0
	s_sendmsg sendmsg(MSG_DEALLOC_VGPRS)
	s_endpgm
	.section	.rodata,"a",@progbits
	.p2align	6, 0x0
	.amdhsa_kernel bluestein_single_back_len882_dim1_sp_op_CI_CI
		.amdhsa_group_segment_fixed_size 7056
		.amdhsa_private_segment_fixed_size 0
		.amdhsa_kernarg_size 104
		.amdhsa_user_sgpr_count 2
		.amdhsa_user_sgpr_dispatch_ptr 0
		.amdhsa_user_sgpr_queue_ptr 0
		.amdhsa_user_sgpr_kernarg_segment_ptr 1
		.amdhsa_user_sgpr_dispatch_id 0
		.amdhsa_user_sgpr_private_segment_size 0
		.amdhsa_wavefront_size32 1
		.amdhsa_uses_dynamic_stack 0
		.amdhsa_enable_private_segment 0
		.amdhsa_system_sgpr_workgroup_id_x 1
		.amdhsa_system_sgpr_workgroup_id_y 0
		.amdhsa_system_sgpr_workgroup_id_z 0
		.amdhsa_system_sgpr_workgroup_info 0
		.amdhsa_system_vgpr_workitem_id 0
		.amdhsa_next_free_vgpr 136
		.amdhsa_next_free_sgpr 16
		.amdhsa_reserve_vcc 1
		.amdhsa_float_round_mode_32 0
		.amdhsa_float_round_mode_16_64 0
		.amdhsa_float_denorm_mode_32 3
		.amdhsa_float_denorm_mode_16_64 3
		.amdhsa_fp16_overflow 0
		.amdhsa_workgroup_processor_mode 1
		.amdhsa_memory_ordered 1
		.amdhsa_forward_progress 0
		.amdhsa_round_robin_scheduling 0
		.amdhsa_exception_fp_ieee_invalid_op 0
		.amdhsa_exception_fp_denorm_src 0
		.amdhsa_exception_fp_ieee_div_zero 0
		.amdhsa_exception_fp_ieee_overflow 0
		.amdhsa_exception_fp_ieee_underflow 0
		.amdhsa_exception_fp_ieee_inexact 0
		.amdhsa_exception_int_div_zero 0
	.end_amdhsa_kernel
	.text
.Lfunc_end0:
	.size	bluestein_single_back_len882_dim1_sp_op_CI_CI, .Lfunc_end0-bluestein_single_back_len882_dim1_sp_op_CI_CI
                                        ; -- End function
	.section	.AMDGPU.csdata,"",@progbits
; Kernel info:
; codeLenInByte = 15136
; NumSgprs: 18
; NumVgprs: 136
; ScratchSize: 0
; MemoryBound: 0
; FloatMode: 240
; IeeeMode: 1
; LDSByteSize: 7056 bytes/workgroup (compile time only)
; SGPRBlocks: 2
; VGPRBlocks: 16
; NumSGPRsForWavesPerEU: 18
; NumVGPRsForWavesPerEU: 136
; Occupancy: 9
; WaveLimiterHint : 1
; COMPUTE_PGM_RSRC2:SCRATCH_EN: 0
; COMPUTE_PGM_RSRC2:USER_SGPR: 2
; COMPUTE_PGM_RSRC2:TRAP_HANDLER: 0
; COMPUTE_PGM_RSRC2:TGID_X_EN: 1
; COMPUTE_PGM_RSRC2:TGID_Y_EN: 0
; COMPUTE_PGM_RSRC2:TGID_Z_EN: 0
; COMPUTE_PGM_RSRC2:TIDIG_COMP_CNT: 0
	.text
	.p2alignl 7, 3214868480
	.fill 96, 4, 3214868480
	.type	__hip_cuid_6a1f6301bdb1ad32,@object ; @__hip_cuid_6a1f6301bdb1ad32
	.section	.bss,"aw",@nobits
	.globl	__hip_cuid_6a1f6301bdb1ad32
__hip_cuid_6a1f6301bdb1ad32:
	.byte	0                               ; 0x0
	.size	__hip_cuid_6a1f6301bdb1ad32, 1

	.ident	"AMD clang version 19.0.0git (https://github.com/RadeonOpenCompute/llvm-project roc-6.4.0 25133 c7fe45cf4b819c5991fe208aaa96edf142730f1d)"
	.section	".note.GNU-stack","",@progbits
	.addrsig
	.addrsig_sym __hip_cuid_6a1f6301bdb1ad32
	.amdgpu_metadata
---
amdhsa.kernels:
  - .args:
      - .actual_access:  read_only
        .address_space:  global
        .offset:         0
        .size:           8
        .value_kind:     global_buffer
      - .actual_access:  read_only
        .address_space:  global
        .offset:         8
        .size:           8
        .value_kind:     global_buffer
      - .actual_access:  read_only
        .address_space:  global
        .offset:         16
        .size:           8
        .value_kind:     global_buffer
      - .actual_access:  read_only
        .address_space:  global
        .offset:         24
        .size:           8
        .value_kind:     global_buffer
      - .actual_access:  read_only
        .address_space:  global
        .offset:         32
        .size:           8
        .value_kind:     global_buffer
      - .offset:         40
        .size:           8
        .value_kind:     by_value
      - .address_space:  global
        .offset:         48
        .size:           8
        .value_kind:     global_buffer
      - .address_space:  global
        .offset:         56
        .size:           8
        .value_kind:     global_buffer
      - .address_space:  global
        .offset:         64
        .size:           8
        .value_kind:     global_buffer
      - .address_space:  global
        .offset:         72
        .size:           8
        .value_kind:     global_buffer
      - .offset:         80
        .size:           4
        .value_kind:     by_value
      - .address_space:  global
        .offset:         88
        .size:           8
        .value_kind:     global_buffer
      - .address_space:  global
        .offset:         96
        .size:           8
        .value_kind:     global_buffer
    .group_segment_fixed_size: 7056
    .kernarg_segment_align: 8
    .kernarg_segment_size: 104
    .language:       OpenCL C
    .language_version:
      - 2
      - 0
    .max_flat_workgroup_size: 63
    .name:           bluestein_single_back_len882_dim1_sp_op_CI_CI
    .private_segment_fixed_size: 0
    .sgpr_count:     18
    .sgpr_spill_count: 0
    .symbol:         bluestein_single_back_len882_dim1_sp_op_CI_CI.kd
    .uniform_work_group_size: 1
    .uses_dynamic_stack: false
    .vgpr_count:     136
    .vgpr_spill_count: 0
    .wavefront_size: 32
    .workgroup_processor_mode: 1
amdhsa.target:   amdgcn-amd-amdhsa--gfx1201
amdhsa.version:
  - 1
  - 2
...

	.end_amdgpu_metadata
